;; amdgpu-corpus repo=ROCm/rocFFT kind=compiled arch=gfx1201 opt=O3
	.text
	.amdgcn_target "amdgcn-amd-amdhsa--gfx1201"
	.amdhsa_code_object_version 6
	.protected	bluestein_single_back_len351_dim1_dp_op_CI_CI ; -- Begin function bluestein_single_back_len351_dim1_dp_op_CI_CI
	.globl	bluestein_single_back_len351_dim1_dp_op_CI_CI
	.p2align	8
	.type	bluestein_single_back_len351_dim1_dp_op_CI_CI,@function
bluestein_single_back_len351_dim1_dp_op_CI_CI: ; @bluestein_single_back_len351_dim1_dp_op_CI_CI
; %bb.0:
	s_load_b128 s[8:11], s[0:1], 0x28
	v_mul_u32_u24_e32 v1, 0x691, v0
	s_mov_b32 s2, exec_lo
	s_delay_alu instid0(VALU_DEP_1) | instskip(NEXT) | instid1(VALU_DEP_1)
	v_lshrrev_b32_e32 v1, 16, v1
	v_mad_co_u64_u32 v[108:109], null, ttmp9, 3, v[1:2]
	v_mov_b32_e32 v109, 0
                                        ; kill: def $vgpr2 killed $sgpr0 killed $exec
	s_wait_kmcnt 0x0
	s_delay_alu instid0(VALU_DEP_1)
	v_cmpx_gt_u64_e64 s[8:9], v[108:109]
	s_cbranch_execz .LBB0_15
; %bb.1:
	v_mul_hi_u32 v2, 0xaaaaaaab, v108
	s_clause 0x1
	s_load_b64 s[8:9], s[0:1], 0x0
	s_load_b64 s[12:13], s[0:1], 0x38
	v_mul_lo_u16 v1, v1, 39
	s_delay_alu instid0(VALU_DEP_1) | instskip(NEXT) | instid1(VALU_DEP_3)
	v_sub_nc_u16 v0, v0, v1
	v_lshrrev_b32_e32 v2, 1, v2
	s_delay_alu instid0(VALU_DEP_2) | instskip(NEXT) | instid1(VALU_DEP_2)
	v_and_b32_e32 v214, 0xffff, v0
	v_lshl_add_u32 v2, v2, 1, v2
	v_cmp_gt_u16_e32 vcc_lo, 27, v0
	s_delay_alu instid0(VALU_DEP_3) | instskip(NEXT) | instid1(VALU_DEP_3)
	v_lshlrev_b32_e32 v213, 4, v214
	v_sub_nc_u32_e32 v1, v108, v2
	s_delay_alu instid0(VALU_DEP_1) | instskip(NEXT) | instid1(VALU_DEP_1)
	v_mul_u32_u24_e32 v217, 0x15f, v1
	v_lshlrev_b32_e32 v215, 4, v217
	s_and_saveexec_b32 s3, vcc_lo
	s_cbranch_execz .LBB0_3
; %bb.2:
	s_load_b64 s[4:5], s[0:1], 0x18
	s_wait_kmcnt 0x0
	s_load_b128 s[4:7], s[4:5], 0x0
	s_wait_kmcnt 0x0
	v_mad_co_u64_u32 v[16:17], null, s4, v214, 0
	v_mad_co_u64_u32 v[0:1], null, s6, v108, 0
	s_delay_alu instid0(VALU_DEP_2) | instskip(NEXT) | instid1(VALU_DEP_1)
	v_mov_b32_e32 v2, v17
	v_mad_co_u64_u32 v[3:4], null, s7, v108, v[1:2]
	s_delay_alu instid0(VALU_DEP_1) | instskip(SKIP_2) | instid1(VALU_DEP_2)
	v_mov_b32_e32 v1, v3
	v_mad_co_u64_u32 v[4:5], null, s5, v214, v[2:3]
	s_mul_u64 s[4:5], s[4:5], 0x1b0
	v_lshlrev_b64_e32 v[18:19], 4, v[0:1]
	s_delay_alu instid0(VALU_DEP_2)
	v_mov_b32_e32 v17, v4
	s_clause 0x3
	global_load_b128 v[0:3], v213, s[8:9]
	global_load_b128 v[4:7], v213, s[8:9] offset:432
	global_load_b128 v[8:11], v213, s[8:9] offset:864
	;; [unrolled: 1-line block ×3, first 2 shown]
	v_add_co_u32 v26, s2, s10, v18
	s_delay_alu instid0(VALU_DEP_1)
	v_add_co_ci_u32_e64 v27, s2, s11, v19, s2
	v_lshlrev_b64_e32 v[24:25], 4, v[16:17]
	s_clause 0x1
	global_load_b128 v[16:19], v213, s[8:9] offset:1728
	global_load_b128 v[20:23], v213, s[8:9] offset:2160
	v_add_co_u32 v40, s2, v26, v24
	s_wait_alu 0xf1ff
	v_add_co_ci_u32_e64 v41, s2, v27, v25, s2
	s_clause 0x1
	global_load_b128 v[24:27], v213, s[8:9] offset:2592
	global_load_b128 v[28:31], v213, s[8:9] offset:3024
	s_wait_alu 0xfffe
	v_add_co_u32 v44, s2, v40, s4
	s_wait_alu 0xf1ff
	v_add_co_ci_u32_e64 v45, s2, s5, v41, s2
	s_clause 0x1
	global_load_b128 v[32:35], v213, s[8:9] offset:3456
	global_load_b128 v[36:39], v213, s[8:9] offset:3888
	v_add_co_u32 v48, s2, v44, s4
	s_wait_alu 0xf1ff
	v_add_co_ci_u32_e64 v49, s2, s5, v45, s2
	s_clause 0x1
	global_load_b128 v[40:43], v[40:41], off
	global_load_b128 v[44:47], v[44:45], off
	v_add_co_u32 v52, s2, v48, s4
	s_wait_alu 0xf1ff
	v_add_co_ci_u32_e64 v53, s2, s5, v49, s2
	s_delay_alu instid0(VALU_DEP_2) | instskip(SKIP_1) | instid1(VALU_DEP_2)
	v_add_co_u32 v56, s2, v52, s4
	s_wait_alu 0xf1ff
	v_add_co_ci_u32_e64 v57, s2, s5, v53, s2
	s_clause 0x1
	global_load_b128 v[48:51], v[48:49], off
	global_load_b128 v[52:55], v[52:53], off
	v_add_co_u32 v60, s2, v56, s4
	s_wait_alu 0xf1ff
	v_add_co_ci_u32_e64 v61, s2, s5, v57, s2
	global_load_b128 v[56:59], v[56:57], off
	v_add_co_u32 v64, s2, v60, s4
	s_wait_alu 0xf1ff
	v_add_co_ci_u32_e64 v65, s2, s5, v61, s2
	;; [unrolled: 4-line block ×8, first 2 shown]
	s_clause 0x1
	global_load_b128 v[84:87], v213, s[8:9] offset:4320
	global_load_b128 v[88:91], v213, s[8:9] offset:4752
	global_load_b128 v[92:95], v[92:93], off
	global_load_b128 v[96:99], v213, s[8:9] offset:5184
	global_load_b128 v[100:103], v[100:101], off
	s_wait_loadcnt 0xf
	v_mul_f64_e32 v[104:105], v[42:43], v[2:3]
	v_mul_f64_e32 v[2:3], v[40:41], v[2:3]
	s_wait_loadcnt 0xe
	v_mul_f64_e32 v[106:107], v[46:47], v[6:7]
	v_mul_f64_e32 v[6:7], v[44:45], v[6:7]
	;; [unrolled: 3-line block ×10, first 2 shown]
	v_fma_f64 v[38:39], v[40:41], v[0:1], v[104:105]
	v_fma_f64 v[40:41], v[42:43], v[0:1], -v[2:3]
	v_fma_f64 v[0:1], v[44:45], v[4:5], v[106:107]
	v_fma_f64 v[2:3], v[46:47], v[4:5], -v[6:7]
	s_wait_loadcnt 0x4
	v_mul_f64_e32 v[127:128], v[82:83], v[86:87]
	v_mul_f64_e32 v[86:87], v[80:81], v[86:87]
	s_wait_loadcnt 0x2
	v_mul_f64_e32 v[129:130], v[94:95], v[90:91]
	v_mul_f64_e32 v[90:91], v[92:93], v[90:91]
	;; [unrolled: 3-line block ×3, first 2 shown]
	v_fma_f64 v[4:5], v[48:49], v[8:9], v[109:110]
	v_fma_f64 v[6:7], v[50:51], v[8:9], -v[10:11]
	v_fma_f64 v[8:9], v[52:53], v[12:13], v[111:112]
	v_fma_f64 v[10:11], v[54:55], v[12:13], -v[14:15]
	v_fma_f64 v[12:13], v[56:57], v[16:17], v[113:114]
	v_fma_f64 v[14:15], v[58:59], v[16:17], -v[18:19]
	v_fma_f64 v[16:17], v[60:61], v[20:21], v[115:116]
	v_fma_f64 v[18:19], v[62:63], v[20:21], -v[22:23]
	v_fma_f64 v[20:21], v[64:65], v[24:25], v[117:118]
	v_fma_f64 v[22:23], v[66:67], v[24:25], -v[26:27]
	v_fma_f64 v[24:25], v[68:69], v[28:29], v[119:120]
	v_fma_f64 v[26:27], v[70:71], v[28:29], -v[30:31]
	v_fma_f64 v[28:29], v[72:73], v[32:33], v[121:122]
	v_fma_f64 v[30:31], v[74:75], v[32:33], -v[34:35]
	v_fma_f64 v[32:33], v[76:77], v[36:37], v[123:124]
	v_fma_f64 v[34:35], v[78:79], v[36:37], -v[125:126]
	v_lshl_add_u32 v36, v214, 4, v215
	v_add_nc_u32_e32 v37, v215, v213
	v_fma_f64 v[42:43], v[80:81], v[84:85], v[127:128]
	v_fma_f64 v[44:45], v[82:83], v[84:85], -v[86:87]
	v_fma_f64 v[46:47], v[92:93], v[88:89], v[129:130]
	v_fma_f64 v[48:49], v[94:95], v[88:89], -v[90:91]
	;; [unrolled: 2-line block ×3, first 2 shown]
	ds_store_b128 v36, v[38:41]
	ds_store_b128 v37, v[0:3] offset:432
	ds_store_b128 v37, v[4:7] offset:864
	;; [unrolled: 1-line block ×12, first 2 shown]
.LBB0_3:
	s_or_b32 exec_lo, exec_lo, s3
	s_clause 0x1
	s_load_b64 s[2:3], s[0:1], 0x20
	s_load_b64 s[4:5], s[0:1], 0x8
	global_wb scope:SCOPE_SE
	s_wait_dscnt 0x0
	s_wait_kmcnt 0x0
	s_barrier_signal -1
	s_barrier_wait -1
	global_inv scope:SCOPE_SE
                                        ; implicit-def: $vgpr32_vgpr33
                                        ; implicit-def: $vgpr48_vgpr49
                                        ; implicit-def: $vgpr52_vgpr53
                                        ; implicit-def: $vgpr56_vgpr57
                                        ; implicit-def: $vgpr64_vgpr65
                                        ; implicit-def: $vgpr60_vgpr61
                                        ; implicit-def: $vgpr44_vgpr45
                                        ; implicit-def: $vgpr40_vgpr41
                                        ; implicit-def: $vgpr36_vgpr37
                                        ; implicit-def: $vgpr28_vgpr29
                                        ; implicit-def: $vgpr24_vgpr25
                                        ; implicit-def: $vgpr20_vgpr21
                                        ; implicit-def: $vgpr16_vgpr17
	s_and_saveexec_b32 s0, vcc_lo
	s_cbranch_execz .LBB0_5
; %bb.4:
	v_lshl_add_u32 v0, v217, 4, v213
	ds_load_b128 v[32:35], v0
	ds_load_b128 v[48:51], v0 offset:432
	ds_load_b128 v[52:55], v0 offset:864
	;; [unrolled: 1-line block ×12, first 2 shown]
.LBB0_5:
	s_wait_alu 0xfffe
	s_or_b32 exec_lo, exec_lo, s0
	s_wait_dscnt 0x0
	v_add_f64_e64 v[76:77], v[50:51], -v[18:19]
	v_add_f64_e64 v[72:73], v[48:49], -v[16:17]
	s_mov_b32 s0, 0x4267c47c
	s_mov_b32 s14, 0x42a4c3d2
	;; [unrolled: 1-line block ×8, first 2 shown]
	v_add_f64_e32 v[70:71], v[48:49], v[16:17]
	v_add_f64_e32 v[74:75], v[50:51], v[18:19]
	v_add_f64_e64 v[78:79], v[54:55], -v[22:23]
	v_add_f64_e64 v[68:69], v[52:53], -v[20:21]
	s_mov_b32 s20, 0xe00740e9
	s_mov_b32 s24, 0x1ea71119
	;; [unrolled: 1-line block ×12, first 2 shown]
	v_add_f64_e64 v[205:206], v[58:59], -v[26:27]
	v_add_f64_e64 v[155:156], v[56:57], -v[24:25]
	v_add_f64_e32 v[143:144], v[52:53], v[20:21]
	v_add_f64_e32 v[207:208], v[54:55], v[22:23]
	s_mov_b32 s30, 0x93053d00
	s_mov_b32 s36, 0xd0032e0c
	;; [unrolled: 1-line block ×6, first 2 shown]
	s_wait_alu 0xfffe
	s_mov_b32 s22, s6
	s_mov_b32 s28, s0
	v_mul_f64_e32 v[80:81], s[0:1], v[76:77]
	v_mul_f64_e32 v[82:83], s[0:1], v[72:73]
	;; [unrolled: 1-line block ×8, first 2 shown]
	v_add_f64_e32 v[173:174], v[56:57], v[24:25]
	v_add_f64_e32 v[209:210], v[58:59], v[26:27]
	v_add_f64_e64 v[92:93], v[64:65], -v[28:29]
	v_add_f64_e64 v[175:176], v[66:67], -v[30:31]
	v_mul_f64_e32 v[98:99], s[14:15], v[78:79]
	v_mul_f64_e32 v[100:101], s[14:15], v[68:69]
	;; [unrolled: 1-line block ×8, first 2 shown]
	v_add_f64_e32 v[111:112], v[64:65], v[28:29]
	v_add_f64_e32 v[199:200], v[66:67], v[30:31]
	v_add_f64_e64 v[94:95], v[60:61], -v[36:37]
	v_add_f64_e64 v[151:152], v[62:63], -v[38:39]
	s_mov_b32 s45, 0xbfe5384d
	s_mov_b32 s35, 0x3fefc445
	v_mul_f64_e32 v[145:146], s[10:11], v[205:206]
	v_mul_f64_e32 v[161:162], s[10:11], v[155:156]
	;; [unrolled: 1-line block ×8, first 2 shown]
	s_mov_b32 s41, 0x3fcea1e5
	s_mov_b32 s44, s38
	;; [unrolled: 1-line block ×4, first 2 shown]
	v_fma_f64 v[0:1], v[70:71], s[20:21], v[80:81]
	v_fma_f64 v[2:3], v[74:75], s[20:21], -v[82:83]
	v_fma_f64 v[4:5], v[70:71], s[24:25], v[84:85]
	v_fma_f64 v[6:7], v[74:75], s[24:25], -v[86:87]
	;; [unrolled: 2-line block ×4, first 2 shown]
	v_add_f64_e32 v[193:194], v[62:63], v[38:39]
	v_add_f64_e64 v[163:164], v[46:47], -v[42:43]
	v_mul_f64_e32 v[106:107], s[6:7], v[92:93]
	v_mul_f64_e32 v[102:103], s[6:7], v[175:176]
	v_fma_f64 v[96:97], v[143:144], s[24:25], v[98:99]
	v_fma_f64 v[115:116], v[207:208], s[24:25], -v[100:101]
	v_fma_f64 v[119:120], v[143:144], s[16:17], v[109:110]
	v_fma_f64 v[127:128], v[207:208], s[16:17], -v[121:122]
	;; [unrolled: 2-line block ×4, first 2 shown]
	v_mul_f64_e32 v[113:114], s[38:39], v[175:176]
	v_mul_f64_e32 v[117:118], s[38:39], v[92:93]
	;; [unrolled: 1-line block ×6, first 2 shown]
	v_fma_f64 v[147:148], v[173:174], s[18:19], v[145:146]
	v_fma_f64 v[153:154], v[209:210], s[18:19], -v[161:162]
	v_fma_f64 v[165:166], v[173:174], s[30:31], v[171:172]
	v_fma_f64 v[169:170], v[209:210], s[30:31], -v[181:182]
	v_fma_f64 v[177:178], v[173:174], s[16:17], v[189:190]
	v_fma_f64 v[187:188], v[209:210], s[16:17], -v[191:192]
	v_fma_f64 v[195:196], v[173:174], s[20:21], v[197:198]
	v_fma_f64 v[218:219], v[209:210], s[20:21], -v[201:202]
	v_mul_f64_e32 v[141:142], s[34:35], v[94:95]
	v_mul_f64_e32 v[149:150], s[14:15], v[151:152]
	;; [unrolled: 1-line block ×4, first 2 shown]
	v_add_f64_e32 v[0:1], v[32:33], v[0:1]
	v_add_f64_e32 v[2:3], v[34:35], v[2:3]
	;; [unrolled: 1-line block ×8, first 2 shown]
	v_mul_f64_e32 v[185:186], s[40:41], v[94:95]
	s_mov_b32 s43, 0x3fea55e2
	v_fma_f64 v[222:223], v[199:200], s[16:17], -v[106:107]
	v_fma_f64 v[220:221], v[111:112], s[16:17], v[102:103]
	s_mov_b32 s42, s14
	v_mul_lo_u16 v216, v214, 13
	global_wb scope:SCOPE_SE
	s_barrier_signal -1
	s_barrier_wait -1
	global_inv scope:SCOPE_SE
	v_fma_f64 v[224:225], v[111:112], s[36:37], v[113:114]
	v_fma_f64 v[226:227], v[199:200], s[36:37], -v[117:118]
	v_fma_f64 v[228:229], v[111:112], s[20:21], v[125:126]
	v_fma_f64 v[230:231], v[199:200], s[20:21], -v[131:132]
	;; [unrolled: 2-line block ×3, first 2 shown]
	v_fma_f64 v[240:241], v[193:194], s[18:19], -v[141:142]
	v_fma_f64 v[244:245], v[193:194], s[24:25], -v[159:160]
	v_add_f64_e32 v[0:1], v[96:97], v[0:1]
	v_add_f64_e32 v[2:3], v[115:116], v[2:3]
	;; [unrolled: 1-line block ×9, first 2 shown]
	v_add_f64_e64 v[96:97], v[44:45], -v[40:41]
	v_mul_f64_e32 v[119:120], s[44:45], v[151:152]
	v_mul_f64_e32 v[127:128], s[44:45], v[94:95]
	;; [unrolled: 1-line block ×3, first 2 shown]
	v_add_f64_e32 v[135:136], v[44:45], v[40:41]
	v_mul_f64_e32 v[129:130], s[26:27], v[163:164]
	v_fma_f64 v[248:249], v[193:194], s[30:31], -v[185:186]
	v_add_f64_e32 v[0:1], v[147:148], v[0:1]
	v_add_f64_e32 v[2:3], v[153:154], v[2:3]
	;; [unrolled: 1-line block ×9, first 2 shown]
	v_mul_f64_e32 v[137:138], s[26:27], v[96:97]
	v_mul_f64_e32 v[147:148], s[28:29], v[163:164]
	;; [unrolled: 1-line block ×7, first 2 shown]
	v_fma_f64 v[218:219], v[115:116], s[36:37], v[119:120]
	v_fma_f64 v[236:237], v[193:194], s[36:37], -v[127:128]
	v_fma_f64 v[238:239], v[115:116], s[18:19], v[133:134]
	v_fma_f64 v[242:243], v[115:116], s[24:25], v[149:150]
	;; [unrolled: 1-line block ×3, first 2 shown]
	v_add_f64_e32 v[0:1], v[220:221], v[0:1]
	v_add_f64_e32 v[2:3], v[222:223], v[2:3]
	;; [unrolled: 1-line block ×8, first 2 shown]
	v_fma_f64 v[220:221], v[135:136], s[30:31], v[129:130]
	v_fma_f64 v[222:223], v[195:196], s[30:31], -v[137:138]
	v_fma_f64 v[224:225], v[135:136], s[20:21], v[147:148]
	v_fma_f64 v[226:227], v[195:196], s[20:21], -v[153:154]
	;; [unrolled: 2-line block ×4, first 2 shown]
	v_add_f64_e32 v[0:1], v[218:219], v[0:1]
	v_add_f64_e32 v[2:3], v[236:237], v[2:3]
	v_add_f64_e32 v[4:5], v[238:239], v[4:5]
	v_add_f64_e32 v[6:7], v[240:241], v[6:7]
	v_add_f64_e32 v[8:9], v[242:243], v[8:9]
	v_add_f64_e32 v[10:11], v[244:245], v[10:11]
	v_add_f64_e32 v[12:13], v[246:247], v[12:13]
	v_add_f64_e32 v[14:15], v[248:249], v[14:15]
	v_add_f64_e32 v[0:1], v[220:221], v[0:1]
	v_add_f64_e32 v[2:3], v[222:223], v[2:3]
	v_add_f64_e32 v[4:5], v[224:225], v[4:5]
	v_add_f64_e32 v[6:7], v[226:227], v[6:7]
	v_add_f64_e32 v[8:9], v[228:229], v[8:9]
	v_add_f64_e32 v[10:11], v[230:231], v[10:11]
	v_add_f64_e32 v[12:13], v[232:233], v[12:13]
	v_add_f64_e32 v[14:15], v[234:235], v[14:15]
	s_and_saveexec_b32 s33, vcc_lo
	s_cbranch_execz .LBB0_7
; %bb.6:
	v_add_f64_e32 v[50:51], v[34:35], v[50:51]
	v_add_f64_e32 v[48:49], v[32:33], v[48:49]
	v_mul_f64_e32 v[218:219], s[18:19], v[70:71]
	v_mul_f64_e32 v[220:221], s[24:25], v[74:75]
	;; [unrolled: 1-line block ×16, first 2 shown]
	v_add_f64_e32 v[50:51], v[50:51], v[54:55]
	v_add_f64_e32 v[48:49], v[48:49], v[52:53]
	v_mul_f64_e32 v[52:53], s[30:31], v[74:75]
	v_mul_f64_e32 v[54:55], s[26:27], v[76:77]
	v_add_f64_e64 v[84:85], v[222:223], -v[84:85]
	v_add_f64_e64 v[80:81], v[224:225], -v[80:81]
	v_mul_f64_e32 v[222:223], s[18:19], v[173:174]
	v_add_f64_e64 v[109:110], v[232:233], -v[109:110]
	v_mul_f64_e32 v[232:233], s[24:25], v[199:200]
	v_add_f64_e32 v[121:122], v[121:122], v[236:237]
	v_mul_f64_e32 v[224:225], s[16:17], v[111:112]
	v_mul_f64_e32 v[236:237], s[18:19], v[115:116]
	v_add_f64_e64 v[98:99], v[228:229], -v[98:99]
	v_add_f64_e32 v[100:101], v[100:101], v[230:231]
	v_add_f64_e32 v[106:107], v[106:107], v[248:249]
	v_add_f64_e64 v[113:114], v[250:251], -v[113:114]
	v_add_f64_e32 v[117:118], v[117:118], v[252:253]
	v_add_f64_e64 v[125:126], v[254:255], -v[125:126]
	v_add_f64_e32 v[50:51], v[50:51], v[58:59]
	v_add_f64_e32 v[48:49], v[48:49], v[56:57]
	v_mul_f64_e32 v[56:57], s[36:37], v[74:75]
	v_mul_f64_e32 v[58:59], s[44:45], v[76:77]
	;; [unrolled: 1-line block ×3, first 2 shown]
	v_fma_f64 v[240:241], v[72:73], s[40:41], v[52:53]
	v_fma_f64 v[242:243], v[70:71], s[30:31], v[54:55]
	;; [unrolled: 1-line block ×3, first 2 shown]
	v_fma_f64 v[54:55], v[70:71], s[30:31], -v[54:55]
	v_add_f64_e32 v[84:85], v[32:33], v[84:85]
	v_add_f64_e64 v[145:146], v[222:223], -v[145:146]
	v_add_f64_e64 v[102:103], v[224:225], -v[102:103]
	v_mul_f64_e32 v[222:223], s[20:21], v[135:136]
	v_add_f64_e64 v[133:134], v[236:237], -v[133:134]
	v_add_f64_e32 v[50:51], v[50:51], v[66:67]
	v_add_f64_e32 v[48:49], v[48:49], v[64:65]
	v_mul_f64_e32 v[64:65], s[16:17], v[74:75]
	v_mul_f64_e32 v[66:67], s[16:17], v[70:71]
	;; [unrolled: 1-line block ×3, first 2 shown]
	v_fma_f64 v[244:245], v[72:73], s[38:39], v[56:57]
	v_fma_f64 v[246:247], v[70:71], s[36:37], v[58:59]
	;; [unrolled: 1-line block ×3, first 2 shown]
	v_fma_f64 v[58:59], v[70:71], s[36:37], -v[58:59]
	v_add_f64_e32 v[70:71], v[90:91], v[76:77]
	v_add_f64_e64 v[72:73], v[218:219], -v[88:89]
	v_add_f64_e32 v[76:77], v[86:87], v[220:221]
	v_mul_f64_e32 v[86:87], s[36:37], v[207:208]
	v_mul_f64_e32 v[88:89], s[20:21], v[209:210]
	;; [unrolled: 1-line block ×4, first 2 shown]
	v_add_f64_e32 v[240:241], v[34:35], v[240:241]
	v_add_f64_e32 v[242:243], v[32:33], v[242:243]
	;; [unrolled: 1-line block ×4, first 2 shown]
	v_mul_f64_e32 v[90:91], s[16:17], v[173:174]
	v_add_f64_e32 v[50:51], v[50:51], v[62:63]
	v_add_f64_e32 v[48:49], v[48:49], v[60:61]
	v_mul_f64_e32 v[60:61], s[36:37], v[209:210]
	v_mul_f64_e32 v[62:63], s[20:21], v[207:208]
	v_add_f64_e32 v[64:65], v[211:212], v[64:65]
	v_add_f64_e64 v[66:67], v[66:67], -v[203:204]
	v_add_f64_e32 v[74:75], v[82:83], v[74:75]
	v_mul_f64_e32 v[82:83], s[30:31], v[143:144]
	v_add_f64_e32 v[244:245], v[34:35], v[244:245]
	v_add_f64_e32 v[246:247], v[32:33], v[246:247]
	;; [unrolled: 1-line block ×8, first 2 shown]
	v_mul_f64_e32 v[203:204], s[16:17], v[209:210]
	v_mul_f64_e32 v[211:212], s[20:21], v[173:174]
	;; [unrolled: 1-line block ×3, first 2 shown]
	v_add_f64_e32 v[88:89], v[201:202], v[88:89]
	v_mul_f64_e32 v[183:184], s[18:19], v[199:200]
	v_add_f64_e32 v[181:182], v[181:182], v[218:219]
	v_add_f64_e64 v[171:172], v[220:221], -v[171:172]
	v_add_f64_e64 v[90:91], v[90:91], -v[189:190]
	v_mul_f64_e32 v[201:202], s[18:19], v[111:112]
	v_mul_f64_e32 v[218:219], s[30:31], v[193:194]
	;; [unrolled: 1-line block ×4, first 2 shown]
	v_add_f64_e32 v[46:47], v[50:51], v[46:47]
	v_add_f64_e32 v[44:45], v[48:49], v[44:45]
	v_mul_f64_e32 v[48:49], s[30:31], v[207:208]
	v_mul_f64_e32 v[50:51], s[36:37], v[143:144]
	;; [unrolled: 1-line block ×3, first 2 shown]
	v_add_f64_e32 v[64:65], v[34:35], v[64:65]
	v_add_f64_e32 v[66:67], v[32:33], v[66:67]
	;; [unrolled: 1-line block ×4, first 2 shown]
	v_fma_f64 v[74:75], v[155:156], s[38:39], v[60:61]
	v_fma_f64 v[80:81], v[68:69], s[0:1], v[62:63]
	v_add_f64_e64 v[82:83], v[82:83], -v[104:105]
	v_mul_f64_e32 v[205:206], s[14:15], v[205:206]
	v_mul_f64_e32 v[104:105], s[42:43], v[175:176]
	;; [unrolled: 1-line block ×3, first 2 shown]
	v_add_f64_e32 v[191:192], v[191:192], v[203:204]
	v_add_f64_e64 v[197:198], v[211:212], -v[197:198]
	v_add_f64_e32 v[161:162], v[161:162], v[209:210]
	v_mul_f64_e32 v[203:204], s[24:25], v[193:194]
	v_mul_f64_e32 v[211:212], s[36:37], v[115:116]
	v_mul_f64_e32 v[209:210], s[30:31], v[195:196]
	v_add_f64_e64 v[157:158], v[201:202], -v[157:158]
	v_add_f64_e32 v[42:43], v[46:47], v[42:43]
	v_add_f64_e32 v[40:41], v[44:45], v[40:41]
	v_fma_f64 v[44:45], v[143:144], s[20:21], v[226:227]
	v_fma_f64 v[46:47], v[155:156], s[44:45], v[60:61]
	;; [unrolled: 1-line block ×3, first 2 shown]
	v_fma_f64 v[62:63], v[143:144], s[20:21], -v[226:227]
	v_fma_f64 v[226:227], v[155:156], s[42:43], v[234:235]
	v_fma_f64 v[155:156], v[155:156], s[14:15], v[234:235]
	v_fma_f64 v[234:235], v[68:69], s[10:11], v[238:239]
	v_fma_f64 v[68:69], v[68:69], s[34:35], v[238:239]
	v_add_f64_e32 v[48:49], v[139:140], v[48:49]
	v_add_f64_e64 v[50:51], v[50:51], -v[123:124]
	v_fma_f64 v[238:239], v[143:144], s[18:19], v[78:79]
	v_fma_f64 v[78:79], v[143:144], s[18:19], -v[78:79]
	v_mul_f64_e32 v[143:144], s[20:21], v[199:200]
	v_mul_f64_e32 v[199:200], s[30:31], v[199:200]
	v_fma_f64 v[230:231], v[173:174], s[36:37], v[207:208]
	v_fma_f64 v[207:208], v[173:174], s[36:37], -v[207:208]
	v_add_f64_e32 v[64:65], v[86:87], v[64:65]
	v_add_f64_e32 v[72:73], v[82:83], v[72:73]
	v_fma_f64 v[228:229], v[173:174], s[24:25], v[205:206]
	v_fma_f64 v[173:174], v[173:174], s[24:25], -v[205:206]
	v_add_f64_e32 v[80:81], v[80:81], v[240:241]
	v_add_f64_e32 v[34:35], v[100:101], v[34:35]
	;; [unrolled: 1-line block ×3, first 2 shown]
	v_mul_f64_e32 v[123:124], s[18:19], v[193:194]
	v_mul_f64_e32 v[82:83], s[20:21], v[193:194]
	v_fma_f64 v[86:87], v[92:93], s[14:15], v[232:233]
	v_fma_f64 v[98:99], v[111:112], s[24:25], v[104:105]
	;; [unrolled: 1-line block ×3, first 2 shown]
	v_fma_f64 v[104:105], v[111:112], s[24:25], -v[104:105]
	v_mul_f64_e32 v[205:206], s[24:25], v[115:116]
	v_mul_f64_e32 v[139:140], s[36:37], v[193:194]
	;; [unrolled: 1-line block ×3, first 2 shown]
	v_add_f64_e64 v[119:120], v[211:212], -v[119:120]
	v_add_f64_e32 v[38:39], v[42:43], v[38:39]
	v_add_f64_e32 v[36:37], v[40:41], v[36:37]
	;; [unrolled: 1-line block ×3, first 2 shown]
	v_mul_f64_e32 v[40:41], s[16:17], v[193:194]
	v_add_f64_e32 v[52:53], v[60:61], v[52:53]
	v_add_f64_e32 v[54:55], v[62:63], v[54:55]
	v_mul_f64_e32 v[42:43], s[6:7], v[151:152]
	v_mul_f64_e32 v[242:243], s[36:37], v[135:136]
	;; [unrolled: 1-line block ×3, first 2 shown]
	v_add_f64_e32 v[56:57], v[68:69], v[56:57]
	v_add_f64_e32 v[48:49], v[48:49], v[70:71]
	;; [unrolled: 1-line block ×8, first 2 shown]
	v_mul_f64_e32 v[84:85], s[28:29], v[151:152]
	v_fma_f64 v[109:110], v[92:93], s[26:27], v[199:200]
	v_fma_f64 v[92:93], v[92:93], s[40:41], v[199:200]
	v_add_f64_e32 v[151:152], v[179:180], v[183:184]
	v_add_f64_e32 v[131:132], v[131:132], v[143:144]
	;; [unrolled: 1-line block ×3, first 2 shown]
	v_fma_f64 v[121:122], v[111:112], s[30:31], v[175:176]
	v_fma_f64 v[111:112], v[111:112], s[30:31], -v[175:176]
	v_add_f64_e32 v[74:75], v[74:75], v[80:81]
	v_add_f64_e32 v[34:35], v[161:162], v[34:35]
	;; [unrolled: 1-line block ×3, first 2 shown]
	v_fma_f64 v[143:144], v[94:95], s[0:1], v[82:83]
	v_fma_f64 v[82:83], v[94:95], s[28:29], v[82:83]
	v_add_f64_e32 v[123:124], v[141:142], v[123:124]
	v_add_f64_e64 v[149:150], v[205:206], -v[149:150]
	v_mul_f64_e32 v[62:63], s[24:25], v[135:136]
	v_mul_f64_e32 v[68:69], s[24:25], v[195:196]
	;; [unrolled: 1-line block ×3, first 2 shown]
	v_add_f64_e32 v[127:128], v[127:128], v[139:140]
	v_add_f64_e32 v[30:31], v[38:39], v[30:31]
	v_add_f64_e32 v[28:29], v[36:37], v[28:29]
	v_add_f64_e32 v[44:45], v[230:231], v[44:45]
	v_mul_f64_e32 v[36:37], s[18:19], v[195:196]
	v_add_f64_e32 v[46:47], v[46:47], v[52:53]
	v_add_f64_e32 v[52:53], v[207:208], v[54:55]
	v_mul_f64_e32 v[38:39], s[34:35], v[163:164]
	v_fma_f64 v[90:91], v[115:116], s[16:17], v[42:43]
	v_fma_f64 v[42:43], v[115:116], s[16:17], -v[42:43]
	v_add_f64_e32 v[54:55], v[155:156], v[56:57]
	v_add_f64_e32 v[56:57], v[88:89], v[64:65]
	v_add_f64_e32 v[64:65], v[181:182], v[70:71]
	v_add_f64_e32 v[70:71], v[171:172], v[76:77]
	v_add_f64_e32 v[48:49], v[191:192], v[48:49]
	v_add_f64_e32 v[50:51], v[197:198], v[50:51]
	v_add_f64_e32 v[58:59], v[173:174], v[58:59]
	v_add_f64_e32 v[66:67], v[226:227], v[66:67]
	v_add_f64_e32 v[76:77], v[228:229], v[78:79]
	v_fma_f64 v[88:89], v[94:95], s[22:23], v[40:41]
	v_fma_f64 v[40:41], v[94:95], s[6:7], v[40:41]
	v_add_f64_e32 v[94:95], v[185:186], v[218:219]
	v_mul_f64_e32 v[78:79], s[16:17], v[195:196]
	v_add_f64_e32 v[155:156], v[159:160], v[203:204]
	v_add_f64_e32 v[72:73], v[125:126], v[72:73]
	v_fma_f64 v[145:146], v[115:116], s[20:21], v[84:85]
	v_fma_f64 v[84:85], v[115:116], s[20:21], -v[84:85]
	v_add_f64_e64 v[115:116], v[189:190], -v[167:168]
	v_add_f64_e32 v[74:75], v[86:87], v[74:75]
	v_add_f64_e32 v[34:35], v[106:107], v[34:35]
	;; [unrolled: 1-line block ×3, first 2 shown]
	v_add_f64_e64 v[62:63], v[62:63], -v[177:178]
	v_add_f64_e32 v[68:69], v[187:188], v[68:69]
	v_add_f64_e32 v[26:27], v[30:31], v[26:27]
	v_add_f64_e32 v[24:25], v[28:29], v[24:25]
	v_add_f64_e32 v[44:45], v[98:99], v[44:45]
	v_add_f64_e32 v[28:29], v[102:103], v[32:33]
	v_add_f64_e32 v[46:47], v[100:101], v[46:47]
	v_add_f64_e32 v[52:53], v[104:105], v[52:53]
	v_fma_f64 v[30:31], v[96:97], s[10:11], v[36:37]
	v_fma_f64 v[32:33], v[135:136], s[18:19], v[38:39]
	;; [unrolled: 1-line block ×3, first 2 shown]
	v_add_f64_e32 v[54:55], v[92:93], v[54:55]
	v_add_f64_e32 v[56:57], v[151:152], v[56:57]
	;; [unrolled: 1-line block ×9, first 2 shown]
	v_fma_f64 v[38:39], v[135:136], s[18:19], -v[38:39]
	v_add_f64_e32 v[98:99], v[153:154], v[240:241]
	v_add_f64_e64 v[100:101], v[222:223], -v[147:148]
	v_fma_f64 v[86:87], v[96:97], s[22:23], v[78:79]
	v_fma_f64 v[78:79], v[96:97], s[6:7], v[78:79]
	v_add_f64_e64 v[96:97], v[242:243], -v[165:166]
	v_fma_f64 v[92:93], v[135:136], s[16:17], v[80:81]
	v_fma_f64 v[80:81], v[135:136], s[16:17], -v[80:81]
	v_add_f64_e32 v[102:103], v[137:138], v[209:210]
	v_add_f64_e32 v[74:75], v[88:89], v[74:75]
	v_add_f64_e64 v[104:105], v[220:221], -v[129:130]
	v_add_f64_e32 v[44:45], v[90:91], v[44:45]
	v_add_f64_e32 v[40:41], v[40:41], v[46:47]
	;; [unrolled: 1-line block ×35, first 2 shown]
	v_and_b32_e32 v52, 0xffff, v216
	s_delay_alu instid0(VALU_DEP_1)
	v_add_lshl_u32 v52, v217, v52, 4
	ds_store_b128 v52, v[8:11] offset:160
	ds_store_b128 v52, v[4:7] offset:176
	;; [unrolled: 1-line block ×10, first 2 shown]
	ds_store_b128 v52, v[16:19]
	ds_store_b128 v52, v[48:51] offset:16
	ds_store_b128 v52, v[0:3] offset:192
.LBB0_7:
	s_or_b32 exec_lo, exec_lo, s33
	v_add_nc_u16 v16, v214, 39
	v_and_b32_e32 v17, 0xff, v214
	v_add_nc_u16 v18, v214, 0x4e
	s_load_b128 s[0:3], s[2:3], 0x0
	global_wb scope:SCOPE_SE
	s_wait_dscnt 0x0
	v_and_b32_e32 v19, 0xff, v16
	v_mul_lo_u16 v17, 0x4f, v17
	v_and_b32_e32 v20, 0xff, v18
	s_wait_kmcnt 0x0
	s_barrier_signal -1
	s_barrier_wait -1
	v_mul_lo_u16 v19, 0x4f, v19
	v_lshrrev_b16 v109, 10, v17
	v_mul_lo_u16 v17, 0x4f, v20
	global_inv scope:SCOPE_SE
	v_add_lshl_u32 v114, v217, v214, 4
	v_lshrrev_b16 v110, 10, v19
	v_mul_lo_u16 v19, v109, 13
	v_lshrrev_b16 v111, 10, v17
	s_mov_b32 s6, 0xe8584caa
	s_mov_b32 s7, 0x3febb67a
	v_mul_lo_u16 v17, v110, 13
	v_sub_nc_u16 v19, v214, v19
	v_mul_lo_u16 v20, v111, 13
	s_mov_b32 s11, 0xbfebb67a
	s_wait_alu 0xfffe
	s_mov_b32 s10, s6
	v_sub_nc_u16 v16, v16, v17
	v_and_b32_e32 v112, 0xff, v19
	v_sub_nc_u16 v17, v18, v20
	s_mov_b32 s15, 0x3fe491b7
	s_mov_b32 s14, 0x523c161c
	v_and_b32_e32 v113, 0xff, v16
	v_lshlrev_b32_e32 v16, 5, v112
	v_and_b32_e32 v115, 0xff, v17
	s_mov_b32 s16, 0xa2cf5039
	s_mov_b32 s17, 0x3fe8836f
	v_lshlrev_b32_e32 v17, 5, v113
	s_clause 0x1
	global_load_b128 v[28:31], v16, s[4:5]
	global_load_b128 v[24:27], v16, s[4:5] offset:16
	v_lshlrev_b32_e32 v32, 5, v115
	s_clause 0x3
	global_load_b128 v[20:23], v17, s[4:5]
	global_load_b128 v[16:19], v17, s[4:5] offset:16
	global_load_b128 v[36:39], v32, s[4:5]
	global_load_b128 v[32:35], v32, s[4:5] offset:16
	ds_load_b128 v[40:43], v114 offset:1872
	ds_load_b128 v[44:47], v114 offset:3744
	;; [unrolled: 1-line block ×7, first 2 shown]
	s_wait_loadcnt_dscnt 0x506
	v_mul_f64_e32 v[68:69], v[42:43], v[30:31]
	s_wait_loadcnt_dscnt 0x405
	v_mul_f64_e32 v[70:71], v[46:47], v[26:27]
	v_mul_f64_e32 v[72:73], v[40:41], v[30:31]
	v_mul_f64_e32 v[74:75], v[44:45], v[26:27]
	s_wait_loadcnt_dscnt 0x304
	v_mul_f64_e32 v[76:77], v[50:51], v[22:23]
	s_wait_loadcnt_dscnt 0x203
	v_mul_f64_e32 v[78:79], v[54:55], v[18:19]
	v_mul_f64_e32 v[80:81], v[48:49], v[22:23]
	v_mul_f64_e32 v[82:83], v[52:53], v[18:19]
	;; [unrolled: 6-line block ×3, first 2 shown]
	v_fma_f64 v[68:69], v[40:41], v[28:29], -v[68:69]
	v_fma_f64 v[70:71], v[44:45], v[24:25], -v[70:71]
	v_fma_f64 v[72:73], v[42:43], v[28:29], v[72:73]
	v_fma_f64 v[74:75], v[46:47], v[24:25], v[74:75]
	v_fma_f64 v[48:49], v[48:49], v[20:21], -v[76:77]
	v_fma_f64 v[52:53], v[52:53], v[16:17], -v[78:79]
	v_fma_f64 v[50:51], v[50:51], v[20:21], v[80:81]
	v_fma_f64 v[54:55], v[54:55], v[16:17], v[82:83]
	;; [unrolled: 4-line block ×3, first 2 shown]
	ds_load_b128 v[40:43], v114
	ds_load_b128 v[44:47], v114 offset:624
	global_wb scope:SCOPE_SE
	s_wait_dscnt 0x0
	s_barrier_signal -1
	s_barrier_wait -1
	global_inv scope:SCOPE_SE
	v_add_f64_e32 v[88:89], v[40:41], v[68:69]
	v_add_f64_e32 v[76:77], v[68:69], v[70:71]
	v_add_f64_e64 v[68:69], v[68:69], -v[70:71]
	v_add_f64_e32 v[78:79], v[72:73], v[74:75]
	v_add_f64_e64 v[90:91], v[72:73], -v[74:75]
	v_add_f64_e32 v[80:81], v[48:49], v[52:53]
	v_add_f64_e32 v[72:73], v[42:43], v[72:73]
	v_add_f64_e32 v[82:83], v[50:51], v[54:55]
	v_add_f64_e32 v[92:93], v[44:45], v[48:49]
	v_add_f64_e32 v[84:85], v[56:57], v[60:61]
	v_add_f64_e32 v[94:95], v[46:47], v[50:51]
	v_add_f64_e32 v[86:87], v[58:59], v[62:63]
	v_add_f64_e32 v[96:97], v[64:65], v[56:57]
	v_add_f64_e32 v[98:99], v[66:67], v[58:59]
	v_add_f64_e64 v[100:101], v[50:51], -v[54:55]
	v_add_f64_e64 v[102:103], v[48:49], -v[52:53]
	;; [unrolled: 1-line block ×4, first 2 shown]
	v_fma_f64 v[76:77], v[76:77], -0.5, v[40:41]
	v_add_f64_e32 v[40:41], v[88:89], v[70:71]
	v_fma_f64 v[78:79], v[78:79], -0.5, v[42:43]
	v_fma_f64 v[80:81], v[80:81], -0.5, v[44:45]
	v_add_f64_e32 v[42:43], v[72:73], v[74:75]
	v_fma_f64 v[82:83], v[82:83], -0.5, v[46:47]
	v_add_f64_e32 v[44:45], v[92:93], v[52:53]
	;; [unrolled: 2-line block ×4, first 2 shown]
	v_add_f64_e32 v[50:51], v[98:99], v[62:63]
	v_fma_f64 v[52:53], v[90:91], s[6:7], v[76:77]
	s_wait_alu 0xfffe
	v_fma_f64 v[56:57], v[90:91], s[10:11], v[76:77]
	v_fma_f64 v[54:55], v[68:69], s[10:11], v[78:79]
	;; [unrolled: 1-line block ×11, first 2 shown]
	v_and_b32_e32 v76, 0xffff, v109
	v_and_b32_e32 v77, 0xffff, v110
	;; [unrolled: 1-line block ×3, first 2 shown]
	v_lshlrev_b32_e32 v79, 7, v214
	s_mov_b32 s6, 0xe8584cab
	v_mul_u32_u24_e32 v76, 39, v76
	v_mul_u32_u24_e32 v77, 39, v77
	;; [unrolled: 1-line block ×3, first 2 shown]
	s_wait_alu 0xfffe
	s_mov_b32 s10, s6
	v_add_nc_u32_e32 v76, v76, v112
	s_delay_alu instid0(VALU_DEP_1) | instskip(SKIP_4) | instid1(VALU_DEP_4)
	v_add_lshl_u32 v118, v217, v76, 4
	v_add_nc_u32_e32 v76, v77, v113
	v_add_nc_u32_e32 v77, v78, v115
	v_lshl_add_u32 v115, v214, 4, v215
	v_lshl_add_u32 v113, v214, 4, v215
	v_add_lshl_u32 v117, v217, v76, 4
	s_delay_alu instid0(VALU_DEP_4)
	v_add_lshl_u32 v116, v217, v77, 4
	ds_store_b128 v118, v[40:43]
	ds_store_b128 v118, v[52:55] offset:208
	ds_store_b128 v118, v[56:59] offset:416
	ds_store_b128 v117, v[44:47]
	ds_store_b128 v117, v[60:63] offset:208
	ds_store_b128 v117, v[64:67] offset:416
	;; [unrolled: 3-line block ×3, first 2 shown]
	global_wb scope:SCOPE_SE
	s_wait_dscnt 0x0
	s_barrier_signal -1
	s_barrier_wait -1
	global_inv scope:SCOPE_SE
	s_clause 0x7
	global_load_b128 v[48:51], v79, s[4:5] offset:416
	global_load_b128 v[56:59], v79, s[4:5] offset:528
	;; [unrolled: 1-line block ×8, first 2 shown]
	ds_load_b128 v[72:75], v114 offset:624
	ds_load_b128 v[76:79], v114 offset:4992
	;; [unrolled: 1-line block ×7, first 2 shown]
	s_mov_b32 s4, 0x8c811c17
	s_mov_b32 s5, 0x3fef838b
	s_wait_loadcnt_dscnt 0x706
	v_mul_f64_e32 v[100:101], v[74:75], v[50:51]
	v_mul_f64_e32 v[102:103], v[72:73], v[50:51]
	s_wait_loadcnt_dscnt 0x605
	v_mul_f64_e32 v[104:105], v[78:79], v[58:59]
	v_mul_f64_e32 v[106:107], v[76:77], v[58:59]
	;; [unrolled: 3-line block ×6, first 2 shown]
	v_fma_f64 v[100:101], v[72:73], v[48:49], -v[100:101]
	v_fma_f64 v[102:103], v[74:75], v[48:49], v[102:103]
	v_fma_f64 v[76:77], v[76:77], v[56:57], -v[104:105]
	v_fma_f64 v[78:79], v[78:79], v[56:57], v[106:107]
	;; [unrolled: 2-line block ×6, first 2 shown]
	ds_load_b128 v[72:75], v114 offset:3744
	ds_load_b128 v[92:95], v114
	s_wait_loadcnt_dscnt 0x102
	v_mul_f64_e32 v[109:110], v[98:99], v[46:47]
	v_mul_f64_e32 v[111:112], v[96:97], v[46:47]
	s_wait_loadcnt_dscnt 0x1
	v_mul_f64_e32 v[119:120], v[74:75], v[42:43]
	v_mul_f64_e32 v[121:122], v[72:73], v[42:43]
	v_add_f64_e64 v[123:124], v[100:101], -v[76:77]
	v_add_f64_e64 v[125:126], v[102:103], -v[78:79]
	v_add_f64_e32 v[76:77], v[100:101], v[76:77]
	v_add_f64_e32 v[78:79], v[102:103], v[78:79]
	;; [unrolled: 1-line block ×4, first 2 shown]
	v_add_f64_e64 v[129:130], v[80:81], -v[84:85]
	v_add_f64_e64 v[131:132], v[82:83], -v[86:87]
	v_add_f64_e32 v[133:134], v[88:89], v[104:105]
	v_add_f64_e32 v[135:136], v[90:91], v[106:107]
	v_add_f64_e64 v[88:89], v[88:89], -v[104:105]
	v_add_f64_e64 v[90:91], v[90:91], -v[106:107]
	v_fma_f64 v[96:97], v[96:97], v[44:45], -v[109:110]
	v_fma_f64 v[98:99], v[98:99], v[44:45], v[111:112]
	v_fma_f64 v[72:73], v[72:73], v[40:41], -v[119:120]
	v_fma_f64 v[74:75], v[74:75], v[40:41], v[121:122]
	v_mul_f64_e32 v[102:103], s[14:15], v[123:124]
	v_mul_f64_e32 v[104:105], s[14:15], v[125:126]
	s_mov_b32 s15, 0xbfe491b7
	s_wait_dscnt 0x0
	v_fma_f64 v[106:107], v[76:77], s[16:17], v[92:93]
	v_fma_f64 v[109:110], v[100:101], s[16:17], v[92:93]
	;; [unrolled: 1-line block ×3, first 2 shown]
	s_wait_alu 0xfffe
	v_mul_f64_e32 v[119:120], s[4:5], v[129:130]
	v_mul_f64_e32 v[121:122], s[4:5], v[131:132]
	v_fma_f64 v[137:138], v[133:134], s[16:17], v[92:93]
	v_fma_f64 v[139:140], v[135:136], s[16:17], v[94:95]
	v_mul_f64_e32 v[141:142], s[14:15], v[131:132]
	v_mul_f64_e32 v[143:144], s[14:15], v[129:130]
	v_fma_f64 v[145:146], v[78:79], s[16:17], v[94:95]
	s_mov_b32 s16, 0x7e0b738b
	s_mov_b32 s17, 0x3fc63a1a
	v_add_f64_e32 v[151:152], v[133:134], v[76:77]
	v_add_f64_e32 v[153:154], v[135:136], v[78:79]
	;; [unrolled: 1-line block ×4, first 2 shown]
	v_add_f64_e64 v[72:73], v[96:97], -v[72:73]
	v_add_f64_e64 v[74:75], v[98:99], -v[74:75]
	v_fma_f64 v[96:97], v[88:89], s[4:5], v[102:103]
	v_fma_f64 v[98:99], v[90:91], s[4:5], v[104:105]
	s_wait_alu 0xfffe
	v_fma_f64 v[102:103], v[133:134], s[16:17], v[106:107]
	v_fma_f64 v[104:105], v[76:77], s[16:17], v[109:110]
	;; [unrolled: 1-line block ×3, first 2 shown]
	v_fma_f64 v[109:110], v[88:89], s[14:15], -v[119:120]
	v_fma_f64 v[111:112], v[90:91], s[14:15], -v[121:122]
	v_fma_f64 v[119:120], v[100:101], s[16:17], v[137:138]
	v_fma_f64 v[121:122], v[127:128], s[16:17], v[139:140]
	v_fma_f64 v[137:138], v[125:126], s[4:5], v[141:142]
	v_fma_f64 v[139:140], v[123:124], s[4:5], v[143:144]
	v_fma_f64 v[141:142], v[135:136], s[16:17], v[145:146]
	v_add_f64_e32 v[143:144], v[129:130], v[123:124]
	v_add_f64_e32 v[145:146], v[131:132], v[125:126]
	;; [unrolled: 1-line block ×4, first 2 shown]
	s_mov_b32 s4, 0x748a0bf8
	s_mov_b32 s14, 0x42522d1b
	;; [unrolled: 1-line block ×4, first 2 shown]
	v_add_f64_e32 v[155:156], v[92:93], v[147:148]
	v_add_f64_e32 v[157:158], v[94:95], v[149:150]
	;; [unrolled: 1-line block ×4, first 2 shown]
	v_fma_f64 v[96:97], v[72:73], s[6:7], v[96:97]
	v_fma_f64 v[98:99], v[74:75], s[6:7], v[98:99]
	v_fma_f64 v[102:103], v[147:148], -0.5, v[102:103]
	v_fma_f64 v[104:105], v[147:148], -0.5, v[104:105]
	;; [unrolled: 1-line block ×3, first 2 shown]
	v_fma_f64 v[109:110], v[72:73], s[6:7], v[109:110]
	v_fma_f64 v[111:112], v[74:75], s[6:7], v[111:112]
	v_fma_f64 v[119:120], v[147:148], -0.5, v[119:120]
	v_fma_f64 v[121:122], v[149:150], -0.5, v[121:122]
	v_fma_f64 v[74:75], v[74:75], s[10:11], v[137:138]
	v_fma_f64 v[72:73], v[72:73], s[10:11], v[139:140]
	v_fma_f64 v[137:138], v[149:150], -0.5, v[141:142]
	v_add_f64_e64 v[139:140], v[143:144], -v[88:89]
	v_add_f64_e64 v[141:142], v[145:146], -v[90:91]
	v_fma_f64 v[143:144], v[159:160], -0.5, v[155:156]
	v_fma_f64 v[145:146], v[161:162], -0.5, v[157:158]
	v_add_f64_e32 v[80:81], v[80:81], v[151:152]
	v_add_f64_e32 v[82:83], v[82:83], v[153:154]
	s_wait_alu 0xfffe
	v_fma_f64 v[129:130], v[129:130], s[4:5], v[96:97]
	v_fma_f64 v[96:97], v[131:132], s[4:5], v[98:99]
	;; [unrolled: 1-line block ×12, first 2 shown]
	v_mul_f64_e32 v[106:107], s[6:7], v[139:140]
	v_mul_f64_e32 v[123:124], s[6:7], v[141:142]
	v_add_f64_e32 v[74:75], v[84:85], v[80:81]
	v_add_f64_e32 v[125:126], v[86:87], v[82:83]
	v_fma_f64 v[84:85], v[141:142], s[6:7], v[143:144]
	v_fma_f64 v[86:87], v[139:140], s[10:11], v[145:146]
	v_add_f64_e32 v[76:77], v[96:97], v[98:99]
	v_add_f64_e32 v[88:89], v[111:112], v[104:105]
	v_add_f64_e64 v[90:91], v[78:79], -v[109:110]
	v_add_f64_e32 v[80:81], v[119:120], v[100:101]
	v_add_f64_e64 v[82:83], v[102:103], -v[121:122]
	v_add_f64_e64 v[78:79], v[72:73], -v[129:130]
	v_add_f64_e32 v[72:73], v[92:93], v[74:75]
	v_add_f64_e32 v[74:75], v[94:95], v[125:126]
	v_fma_f64 v[104:105], v[123:124], -2.0, v[84:85]
	v_fma_f64 v[106:107], v[106:107], 2.0, v[86:87]
	v_fma_f64 v[92:93], v[96:97], -2.0, v[76:77]
	v_fma_f64 v[96:97], v[111:112], -2.0, v[88:89]
	v_fma_f64 v[98:99], v[109:110], 2.0, v[90:91]
	v_fma_f64 v[100:101], v[119:120], -2.0, v[80:81]
	v_fma_f64 v[102:103], v[121:122], 2.0, v[82:83]
	v_fma_f64 v[94:95], v[129:130], 2.0, v[78:79]
	ds_store_b128 v115, v[72:75]
	ds_store_b128 v113, v[84:87] offset:1872
	ds_store_b128 v113, v[88:91] offset:2496
	;; [unrolled: 1-line block ×8, first 2 shown]
	global_wb scope:SCOPE_SE
	s_wait_dscnt 0x0
	s_barrier_signal -1
	s_barrier_wait -1
	global_inv scope:SCOPE_SE
	s_and_saveexec_b32 s6, vcc_lo
	s_cbranch_execz .LBB0_9
; %bb.8:
	global_load_b128 v[109:112], v213, s[8:9] offset:5616
	s_add_nc_u64 s[4:5], s[8:9], 0x15f0
	s_clause 0xb
	global_load_b128 v[119:122], v213, s[4:5] offset:432
	global_load_b128 v[123:126], v213, s[4:5] offset:864
	;; [unrolled: 1-line block ×12, first 2 shown]
	ds_load_b128 v[167:170], v115
	s_wait_loadcnt_dscnt 0xc00
	v_mul_f64_e32 v[171:172], v[169:170], v[111:112]
	v_mul_f64_e32 v[111:112], v[167:168], v[111:112]
	s_delay_alu instid0(VALU_DEP_2) | instskip(NEXT) | instid1(VALU_DEP_2)
	v_fma_f64 v[167:168], v[167:168], v[109:110], -v[171:172]
	v_fma_f64 v[169:170], v[169:170], v[109:110], v[111:112]
	ds_store_b128 v115, v[167:170]
	ds_load_b128 v[109:112], v113 offset:432
	ds_load_b128 v[167:170], v113 offset:864
	ds_load_b128 v[171:174], v113 offset:1296
	ds_load_b128 v[175:178], v113 offset:1728
	ds_load_b128 v[179:182], v113 offset:2160
	ds_load_b128 v[183:186], v113 offset:2592
	ds_load_b128 v[187:190], v113 offset:3024
	ds_load_b128 v[191:194], v113 offset:3456
	ds_load_b128 v[195:198], v113 offset:3888
	ds_load_b128 v[199:202], v113 offset:4320
	ds_load_b128 v[203:206], v113 offset:4752
	ds_load_b128 v[207:210], v113 offset:5184
	s_wait_loadcnt_dscnt 0xb0b
	v_mul_f64_e32 v[211:212], v[111:112], v[121:122]
	v_mul_f64_e32 v[121:122], v[109:110], v[121:122]
	s_wait_loadcnt_dscnt 0xa0a
	v_mul_f64_e32 v[217:218], v[169:170], v[125:126]
	v_mul_f64_e32 v[125:126], v[167:168], v[125:126]
	;; [unrolled: 3-line block ×12, first 2 shown]
	v_fma_f64 v[109:110], v[109:110], v[119:120], -v[211:212]
	v_fma_f64 v[111:112], v[111:112], v[119:120], v[121:122]
	v_fma_f64 v[119:120], v[167:168], v[123:124], -v[217:218]
	v_fma_f64 v[121:122], v[169:170], v[123:124], v[125:126]
	;; [unrolled: 2-line block ×12, first 2 shown]
	ds_store_b128 v113, v[109:112] offset:432
	ds_store_b128 v113, v[119:122] offset:864
	ds_store_b128 v113, v[123:126] offset:1296
	ds_store_b128 v113, v[127:130] offset:1728
	ds_store_b128 v113, v[131:134] offset:2160
	ds_store_b128 v113, v[135:138] offset:2592
	ds_store_b128 v113, v[139:142] offset:3024
	ds_store_b128 v113, v[143:146] offset:3456
	ds_store_b128 v113, v[147:150] offset:3888
	ds_store_b128 v113, v[151:154] offset:4320
	ds_store_b128 v113, v[155:158] offset:4752
	ds_store_b128 v113, v[159:162] offset:5184
.LBB0_9:
	s_wait_alu 0xfffe
	s_or_b32 exec_lo, exec_lo, s6
	global_wb scope:SCOPE_SE
	s_wait_dscnt 0x0
	s_barrier_signal -1
	s_barrier_wait -1
	global_inv scope:SCOPE_SE
	s_and_saveexec_b32 s4, vcc_lo
	s_cbranch_execz .LBB0_11
; %bb.10:
	ds_load_b128 v[72:75], v115
	ds_load_b128 v[76:79], v115 offset:432
	ds_load_b128 v[80:83], v115 offset:864
	;; [unrolled: 1-line block ×12, first 2 shown]
.LBB0_11:
	s_wait_alu 0xfffe
	s_or_b32 exec_lo, exec_lo, s4
	global_wb scope:SCOPE_SE
	s_wait_dscnt 0x0
	s_barrier_signal -1
	s_barrier_wait -1
	global_inv scope:SCOPE_SE
	s_and_saveexec_b32 s33, vcc_lo
	s_cbranch_execz .LBB0_13
; %bb.12:
	v_add_f64_e32 v[109:110], v[74:75], v[78:79]
	v_add_f64_e32 v[111:112], v[72:73], v[76:77]
	v_add_f64_e64 v[131:132], v[88:89], -v[12:13]
	v_add_f64_e32 v[135:136], v[86:87], v[10:11]
	v_add_f64_e64 v[133:134], v[86:87], -v[10:11]
	;; [unrolled: 2-line block ×3, first 2 shown]
	v_add_f64_e64 v[141:142], v[82:83], -v[6:7]
	v_add_f64_e32 v[143:144], v[82:83], v[6:7]
	v_add_f64_e32 v[145:146], v[80:81], v[4:5]
	s_mov_b32 s37, 0x3fddbe06
	s_mov_b32 s36, 0x4267c47c
	;; [unrolled: 1-line block ×14, first 2 shown]
	s_wait_alu 0xfffe
	s_mov_b32 s26, s34
	s_mov_b32 s24, s30
	;; [unrolled: 1-line block ×14, first 2 shown]
	v_add_f64_e32 v[109:110], v[109:110], v[82:83]
	v_add_f64_e32 v[111:112], v[111:112], v[80:81]
	v_mul_f64_e32 v[123:124], s[36:37], v[131:132]
	s_mov_b32 s39, 0x3fe5384d
	s_mov_b32 s38, s6
	s_delay_alu instid0(VALU_DEP_3) | instskip(NEXT) | instid1(VALU_DEP_3)
	v_add_f64_e32 v[109:110], v[109:110], v[86:87]
	v_add_f64_e32 v[111:112], v[111:112], v[84:85]
	s_delay_alu instid0(VALU_DEP_2) | instskip(NEXT) | instid1(VALU_DEP_2)
	v_add_f64_e32 v[109:110], v[109:110], v[90:91]
	v_add_f64_e32 v[111:112], v[111:112], v[88:89]
	;; [unrolled: 1-line block ×3, first 2 shown]
	s_delay_alu instid0(VALU_DEP_3) | instskip(NEXT) | instid1(VALU_DEP_3)
	v_add_f64_e32 v[109:110], v[109:110], v[98:99]
	v_add_f64_e32 v[111:112], v[111:112], v[96:97]
	s_delay_alu instid0(VALU_DEP_2) | instskip(NEXT) | instid1(VALU_DEP_2)
	v_add_f64_e32 v[119:120], v[109:110], v[106:107]
	v_add_f64_e32 v[121:122], v[111:112], v[104:105]
	v_add_f64_e64 v[111:112], v[104:105], -v[100:101]
	v_add_f64_e32 v[104:105], v[104:105], v[100:101]
	v_add_f64_e32 v[109:110], v[106:107], v[102:103]
	v_add_f64_e64 v[106:107], v[106:107], -v[102:103]
	v_add_f64_e32 v[119:120], v[119:120], v[102:103]
	v_add_f64_e32 v[121:122], v[121:122], v[100:101]
	;; [unrolled: 1-line block ×3, first 2 shown]
	v_add_f64_e64 v[98:99], v[98:99], -v[94:95]
	v_add_f64_e64 v[102:103], v[96:97], -v[92:93]
	v_add_f64_e32 v[96:97], v[96:97], v[92:93]
	v_mul_f64_e32 v[127:128], s[36:37], v[111:112]
	v_mul_f64_e32 v[129:130], s[36:37], v[106:107]
	;; [unrolled: 1-line block ×6, first 2 shown]
	v_add_f64_e32 v[94:95], v[119:120], v[94:95]
	v_add_f64_e32 v[119:120], v[121:122], v[92:93]
	;; [unrolled: 1-line block ×3, first 2 shown]
	v_add_f64_e64 v[90:91], v[90:91], -v[14:15]
	v_mul_f64_e32 v[80:81], s[36:37], v[102:103]
	v_mul_f64_e32 v[82:83], s[36:37], v[98:99]
	;; [unrolled: 1-line block ×3, first 2 shown]
	v_add_f64_e32 v[14:15], v[94:95], v[14:15]
	v_add_f64_e32 v[12:13], v[119:120], v[12:13]
	v_add_f64_e64 v[94:95], v[84:85], -v[8:9]
	v_mul_f64_e32 v[125:126], s[36:37], v[90:91]
	s_delay_alu instid0(VALU_DEP_4) | instskip(NEXT) | instid1(VALU_DEP_4)
	v_add_f64_e32 v[10:11], v[14:15], v[10:11]
	v_add_f64_e32 v[8:9], v[12:13], v[8:9]
	;; [unrolled: 1-line block ×4, first 2 shown]
	v_mul_f64_e32 v[119:120], s[36:37], v[94:95]
	v_add_f64_e32 v[6:7], v[10:11], v[6:7]
	v_add_f64_e32 v[4:5], v[8:9], v[4:5]
	v_add_f64_e64 v[8:9], v[76:77], -v[0:1]
	v_add_f64_e64 v[10:11], v[78:79], -v[2:3]
	v_mul_f64_e32 v[76:77], s[36:37], v[139:140]
	v_mul_f64_e32 v[78:79], s[36:37], v[141:142]
	s_mov_b32 s37, 0xbfddbe06
	v_add_f64_e32 v[2:3], v[6:7], v[2:3]
	v_add_f64_e32 v[0:1], v[4:5], v[0:1]
	v_mul_f64_e32 v[4:5], s[4:5], v[8:9]
	v_mul_f64_e32 v[6:7], s[6:7], v[8:9]
	;; [unrolled: 1-line block ×3, first 2 shown]
	s_wait_alu 0xfffe
	v_mul_f64_e32 v[86:87], s[24:25], v[8:9]
	v_mul_f64_e32 v[147:148], s[26:27], v[8:9]
	;; [unrolled: 1-line block ×7, first 2 shown]
	v_fma_f64 v[149:150], v[12:13], s[14:15], v[4:5]
	v_fma_f64 v[4:5], v[12:13], s[14:15], -v[4:5]
	v_fma_f64 v[151:152], v[12:13], s[16:17], v[6:7]
	v_fma_f64 v[6:7], v[12:13], s[16:17], -v[6:7]
	;; [unrolled: 2-line block ×6, first 2 shown]
	v_mul_f64_e32 v[12:13], s[4:5], v[10:11]
	v_mul_f64_e32 v[10:11], s[36:37], v[10:11]
	v_fma_f64 v[175:176], v[14:15], s[20:21], -v[165:166]
	v_fma_f64 v[165:166], v[14:15], s[20:21], v[165:166]
	v_fma_f64 v[177:178], v[14:15], s[22:23], -v[167:168]
	v_fma_f64 v[171:172], v[14:15], s[16:17], -v[161:162]
	v_fma_f64 v[161:162], v[14:15], s[16:17], v[161:162]
	v_fma_f64 v[173:174], v[14:15], s[18:19], -v[163:164]
	v_fma_f64 v[163:164], v[14:15], s[18:19], v[163:164]
	v_fma_f64 v[167:168], v[14:15], s[22:23], v[167:168]
	s_mov_b32 s37, 0x3fcea1e5
	s_mov_b32 s36, s4
	v_add_f64_e32 v[151:152], v[74:75], v[151:152]
	v_add_f64_e32 v[181:182], v[74:75], v[6:7]
	v_fma_f64 v[6:7], v[145:146], s[28:29], -v[78:79]
	v_add_f64_e32 v[183:184], v[74:75], v[84:85]
	v_fma_f64 v[78:79], v[145:146], s[28:29], v[78:79]
	v_add_f64_e32 v[84:85], v[74:75], v[86:87]
	v_add_f64_e32 v[153:154], v[74:75], v[153:154]
	;; [unrolled: 1-line block ×5, first 2 shown]
	v_fma_f64 v[169:170], v[14:15], s[14:15], -v[12:13]
	v_fma_f64 v[179:180], v[14:15], s[28:29], -v[10:11]
	v_fma_f64 v[12:13], v[14:15], s[14:15], v[12:13]
	v_fma_f64 v[10:11], v[14:15], s[28:29], v[10:11]
	v_add_f64_e32 v[14:15], v[74:75], v[149:150]
	v_add_f64_e32 v[86:87], v[72:73], v[165:166]
	;; [unrolled: 1-line block ×14, first 2 shown]
	v_fma_f64 v[4:5], v[143:144], s[28:29], v[76:77]
	v_mul_f64_e32 v[8:9], s[6:7], v[94:95]
	v_add_f64_e32 v[185:186], v[72:73], v[10:11]
	v_add_f64_e32 v[12:13], v[72:73], v[12:13]
	v_fma_f64 v[76:77], v[143:144], s[28:29], -v[76:77]
	v_add_f64_e32 v[6:7], v[6:7], v[149:150]
	v_add_f64_e32 v[4:5], v[4:5], v[14:15]
	v_fma_f64 v[10:11], v[135:136], s[16:17], v[8:9]
	v_fma_f64 v[8:9], v[135:136], s[16:17], -v[8:9]
	v_add_f64_e32 v[12:13], v[78:79], v[12:13]
	v_add_f64_e32 v[76:77], v[76:77], v[169:170]
	s_delay_alu instid0(VALU_DEP_4) | instskip(SKIP_1) | instid1(VALU_DEP_3)
	v_add_f64_e32 v[4:5], v[10:11], v[4:5]
	v_mul_f64_e32 v[10:11], s[6:7], v[133:134]
	v_add_f64_e32 v[8:9], v[8:9], v[76:77]
	v_mul_f64_e32 v[76:77], s[26:27], v[94:95]
	s_delay_alu instid0(VALU_DEP_3) | instskip(SKIP_1) | instid1(VALU_DEP_3)
	v_fma_f64 v[14:15], v[137:138], s[16:17], -v[10:11]
	v_fma_f64 v[10:11], v[137:138], s[16:17], v[10:11]
	v_fma_f64 v[78:79], v[135:136], s[22:23], v[76:77]
	v_fma_f64 v[76:77], v[135:136], s[22:23], -v[76:77]
	s_delay_alu instid0(VALU_DEP_4) | instskip(SKIP_2) | instid1(VALU_DEP_2)
	v_add_f64_e32 v[6:7], v[14:15], v[6:7]
	v_mul_f64_e32 v[14:15], s[34:35], v[131:132]
	v_add_f64_e32 v[10:11], v[10:11], v[12:13]
	v_fma_f64 v[72:73], v[92:93], s[22:23], v[14:15]
	v_fma_f64 v[12:13], v[92:93], s[22:23], -v[14:15]
	v_fma_f64 v[14:15], v[104:105], s[20:21], v[191:192]
	s_delay_alu instid0(VALU_DEP_3) | instskip(SKIP_1) | instid1(VALU_DEP_4)
	v_add_f64_e32 v[4:5], v[72:73], v[4:5]
	v_mul_f64_e32 v[72:73], s[34:35], v[90:91]
	v_add_f64_e32 v[8:9], v[12:13], v[8:9]
	s_delay_alu instid0(VALU_DEP_2) | instskip(SKIP_2) | instid1(VALU_DEP_3)
	v_fma_f64 v[74:75], v[88:89], s[22:23], -v[72:73]
	v_fma_f64 v[12:13], v[88:89], s[22:23], v[72:73]
	v_mul_f64_e32 v[72:73], s[30:31], v[139:140]
	v_add_f64_e32 v[6:7], v[74:75], v[6:7]
	v_mul_f64_e32 v[74:75], s[10:11], v[102:103]
	s_delay_alu instid0(VALU_DEP_4) | instskip(NEXT) | instid1(VALU_DEP_2)
	v_add_f64_e32 v[10:11], v[12:13], v[10:11]
	v_fma_f64 v[149:150], v[100:101], s[18:19], v[74:75]
	v_fma_f64 v[12:13], v[100:101], s[18:19], -v[74:75]
	v_mul_f64_e32 v[74:75], s[30:31], v[141:142]
	s_delay_alu instid0(VALU_DEP_3) | instskip(SKIP_1) | instid1(VALU_DEP_4)
	v_add_f64_e32 v[4:5], v[149:150], v[4:5]
	v_mul_f64_e32 v[149:150], s[10:11], v[98:99]
	v_add_f64_e32 v[8:9], v[12:13], v[8:9]
	s_delay_alu instid0(VALU_DEP_2) | instskip(SKIP_1) | instid1(VALU_DEP_2)
	v_fma_f64 v[12:13], v[96:97], s[18:19], v[149:150]
	v_fma_f64 v[187:188], v[96:97], s[18:19], -v[149:150]
	v_add_f64_e32 v[12:13], v[12:13], v[10:11]
	v_fma_f64 v[10:11], v[109:110], s[20:21], -v[189:190]
	s_delay_alu instid0(VALU_DEP_3) | instskip(SKIP_1) | instid1(VALU_DEP_3)
	v_add_f64_e32 v[187:188], v[187:188], v[6:7]
	v_fma_f64 v[6:7], v[109:110], s[20:21], v[189:190]
	v_add_f64_e32 v[10:11], v[10:11], v[8:9]
	v_add_f64_e32 v[8:9], v[14:15], v[12:13]
	v_fma_f64 v[12:13], v[143:144], s[20:21], v[72:73]
	v_fma_f64 v[14:15], v[145:146], s[20:21], -v[74:75]
	v_fma_f64 v[72:73], v[143:144], s[20:21], -v[72:73]
	v_fma_f64 v[74:75], v[145:146], s[20:21], v[74:75]
	v_add_f64_e32 v[6:7], v[6:7], v[4:5]
	v_fma_f64 v[4:5], v[104:105], s[20:21], -v[191:192]
	v_add_f64_e32 v[12:13], v[12:13], v[151:152]
	v_add_f64_e32 v[14:15], v[14:15], v[171:172]
	;; [unrolled: 1-line block ×4, first 2 shown]
	v_mul_f64_e32 v[171:172], s[10:11], v[111:112]
	v_add_f64_e32 v[4:5], v[4:5], v[187:188]
	v_mul_f64_e32 v[187:188], s[10:11], v[106:107]
	v_mul_f64_e32 v[161:162], s[24:25], v[90:91]
	;; [unrolled: 1-line block ×4, first 2 shown]
	v_add_f64_e32 v[12:13], v[78:79], v[12:13]
	v_mul_f64_e32 v[78:79], s[26:27], v[133:134]
	v_add_f64_e32 v[72:73], v[76:77], v[72:73]
	s_delay_alu instid0(VALU_DEP_2) | instskip(SKIP_2) | instid1(VALU_DEP_3)
	v_fma_f64 v[149:150], v[137:138], s[22:23], -v[78:79]
	v_fma_f64 v[76:77], v[137:138], s[22:23], v[78:79]
	v_fma_f64 v[78:79], v[104:105], s[18:19], v[187:188]
	v_add_f64_e32 v[14:15], v[149:150], v[14:15]
	s_wait_alu 0xfffe
	v_mul_f64_e32 v[149:150], s[36:37], v[131:132]
	s_delay_alu instid0(VALU_DEP_4) | instskip(NEXT) | instid1(VALU_DEP_2)
	v_add_f64_e32 v[74:75], v[76:77], v[74:75]
	v_fma_f64 v[151:152], v[92:93], s[14:15], v[149:150]
	v_fma_f64 v[76:77], v[92:93], s[14:15], -v[149:150]
	v_mul_f64_e32 v[149:150], s[38:39], v[139:140]
	s_delay_alu instid0(VALU_DEP_3) | instskip(SKIP_1) | instid1(VALU_DEP_4)
	v_add_f64_e32 v[12:13], v[151:152], v[12:13]
	v_mul_f64_e32 v[151:152], s[36:37], v[90:91]
	v_add_f64_e32 v[72:73], v[76:77], v[72:73]
	s_delay_alu instid0(VALU_DEP_2) | instskip(SKIP_2) | instid1(VALU_DEP_3)
	v_fma_f64 v[76:77], v[88:89], s[14:15], v[151:152]
	v_fma_f64 v[169:170], v[88:89], s[14:15], -v[151:152]
	v_mul_f64_e32 v[151:152], s[38:39], v[141:142]
	v_add_f64_e32 v[74:75], v[76:77], v[74:75]
	v_fma_f64 v[76:77], v[100:101], s[28:29], -v[80:81]
	s_delay_alu instid0(VALU_DEP_4)
	v_add_f64_e32 v[14:15], v[169:170], v[14:15]
	v_fma_f64 v[169:170], v[100:101], s[28:29], v[80:81]
	v_fma_f64 v[80:81], v[135:136], s[28:29], v[119:120]
	v_fma_f64 v[119:120], v[135:136], s[28:29], -v[119:120]
	v_add_f64_e32 v[72:73], v[76:77], v[72:73]
	v_fma_f64 v[76:77], v[96:97], s[28:29], v[82:83]
	v_add_f64_e32 v[12:13], v[169:170], v[12:13]
	v_fma_f64 v[169:170], v[96:97], s[28:29], -v[82:83]
	s_delay_alu instid0(VALU_DEP_3) | instskip(SKIP_1) | instid1(VALU_DEP_3)
	v_add_f64_e32 v[76:77], v[76:77], v[74:75]
	v_fma_f64 v[74:75], v[109:110], s[18:19], -v[171:172]
	v_add_f64_e32 v[169:170], v[169:170], v[14:15]
	v_fma_f64 v[14:15], v[109:110], s[18:19], v[171:172]
	v_mul_f64_e32 v[171:172], s[36:37], v[98:99]
	s_delay_alu instid0(VALU_DEP_4)
	v_add_f64_e32 v[74:75], v[74:75], v[72:73]
	v_add_f64_e32 v[72:73], v[78:79], v[76:77]
	v_fma_f64 v[76:77], v[143:144], s[16:17], v[149:150]
	v_fma_f64 v[78:79], v[145:146], s[16:17], -v[151:152]
	v_add_f64_e32 v[14:15], v[14:15], v[12:13]
	v_fma_f64 v[12:13], v[104:105], s[18:19], -v[187:188]
	v_mul_f64_e32 v[187:188], s[10:11], v[139:140]
	v_fma_f64 v[149:150], v[143:144], s[16:17], -v[149:150]
	v_fma_f64 v[151:152], v[145:146], s[16:17], v[151:152]
	v_add_f64_e32 v[76:77], v[76:77], v[153:154]
	v_add_f64_e32 v[78:79], v[78:79], v[173:174]
	v_mul_f64_e32 v[153:154], s[24:25], v[131:132]
	v_add_f64_e32 v[12:13], v[12:13], v[169:170]
	v_mul_f64_e32 v[169:170], s[36:37], v[102:103]
	v_mul_f64_e32 v[173:174], s[34:35], v[111:112]
	v_add_f64_e32 v[149:150], v[149:150], v[183:184]
	v_add_f64_e32 v[151:152], v[151:152], v[163:164]
	v_mul_f64_e32 v[111:112], s[4:5], v[111:112]
	v_add_f64_e32 v[76:77], v[80:81], v[76:77]
	v_fma_f64 v[80:81], v[137:138], s[28:29], -v[121:122]
	v_fma_f64 v[121:122], v[137:138], s[28:29], v[121:122]
	v_add_f64_e32 v[119:120], v[119:120], v[149:150]
	v_fma_f64 v[149:150], v[92:93], s[20:21], -v[153:154]
	s_delay_alu instid0(VALU_DEP_4)
	v_add_f64_e32 v[78:79], v[80:81], v[78:79]
	v_fma_f64 v[80:81], v[92:93], s[20:21], v[153:154]
	v_add_f64_e32 v[121:122], v[121:122], v[151:152]
	v_fma_f64 v[151:152], v[104:105], s[22:23], v[181:182]
	;; [unrolled: 2-line block ×3, first 2 shown]
	v_add_f64_e32 v[76:77], v[80:81], v[76:77]
	v_fma_f64 v[80:81], v[88:89], s[20:21], -v[161:162]
	s_delay_alu instid0(VALU_DEP_3) | instskip(SKIP_1) | instid1(VALU_DEP_3)
	v_add_f64_e32 v[121:122], v[149:150], v[121:122]
	v_fma_f64 v[149:150], v[100:101], s[14:15], -v[169:170]
	v_add_f64_e32 v[78:79], v[80:81], v[78:79]
	v_fma_f64 v[80:81], v[100:101], s[14:15], v[169:170]
	s_delay_alu instid0(VALU_DEP_3) | instskip(SKIP_1) | instid1(VALU_DEP_3)
	v_add_f64_e32 v[119:120], v[149:150], v[119:120]
	v_fma_f64 v[149:150], v[96:97], s[14:15], v[171:172]
	v_add_f64_e32 v[76:77], v[80:81], v[76:77]
	v_fma_f64 v[80:81], v[96:97], s[14:15], -v[171:172]
	s_delay_alu instid0(VALU_DEP_3) | instskip(SKIP_1) | instid1(VALU_DEP_3)
	v_add_f64_e32 v[149:150], v[149:150], v[121:122]
	v_fma_f64 v[121:122], v[109:110], s[22:23], -v[173:174]
	v_add_f64_e32 v[80:81], v[80:81], v[78:79]
	v_fma_f64 v[78:79], v[109:110], s[22:23], v[173:174]
	s_delay_alu instid0(VALU_DEP_3) | instskip(SKIP_1) | instid1(VALU_DEP_3)
	v_add_f64_e32 v[121:122], v[121:122], v[119:120]
	v_add_f64_e32 v[119:120], v[151:152], v[149:150]
	;; [unrolled: 1-line block ×3, first 2 shown]
	v_fma_f64 v[76:77], v[104:105], s[22:23], -v[181:182]
	s_delay_alu instid0(VALU_DEP_1) | instskip(SKIP_1) | instid1(VALU_DEP_1)
	v_add_f64_e32 v[76:77], v[76:77], v[80:81]
	v_fma_f64 v[80:81], v[143:144], s[18:19], -v[187:188]
	v_add_f64_e32 v[80:81], v[80:81], v[147:148]
	v_mul_f64_e32 v[147:148], s[10:11], v[141:142]
	s_delay_alu instid0(VALU_DEP_1) | instskip(SKIP_1) | instid1(VALU_DEP_2)
	v_fma_f64 v[82:83], v[145:146], s[18:19], v[147:148]
	v_fma_f64 v[147:148], v[145:146], s[18:19], -v[147:148]
	v_add_f64_e32 v[82:83], v[82:83], v[167:168]
	v_mul_f64_e32 v[167:168], s[4:5], v[94:95]
	s_delay_alu instid0(VALU_DEP_3) | instskip(NEXT) | instid1(VALU_DEP_2)
	v_add_f64_e32 v[147:148], v[147:148], v[165:166]
	v_fma_f64 v[189:190], v[135:136], s[14:15], -v[167:168]
	s_delay_alu instid0(VALU_DEP_1) | instskip(SKIP_1) | instid1(VALU_DEP_1)
	v_add_f64_e32 v[80:81], v[189:190], v[80:81]
	v_mul_f64_e32 v[189:190], s[4:5], v[133:134]
	v_fma_f64 v[191:192], v[137:138], s[14:15], v[189:190]
	s_delay_alu instid0(VALU_DEP_1) | instskip(SKIP_1) | instid1(VALU_DEP_1)
	v_add_f64_e32 v[82:83], v[191:192], v[82:83]
	v_mul_f64_e32 v[191:192], s[38:39], v[131:132]
	v_fma_f64 v[193:194], v[92:93], s[16:17], -v[191:192]
	s_delay_alu instid0(VALU_DEP_1) | instskip(SKIP_2) | instid1(VALU_DEP_2)
	v_add_f64_e32 v[80:81], v[193:194], v[80:81]
	v_mul_f64_e32 v[193:194], s[38:39], v[90:91]
	v_mul_f64_e32 v[90:91], s[10:11], v[90:91]
	v_fma_f64 v[195:196], v[88:89], s[16:17], v[193:194]
	s_delay_alu instid0(VALU_DEP_1) | instskip(SKIP_1) | instid1(VALU_DEP_1)
	v_add_f64_e32 v[82:83], v[195:196], v[82:83]
	v_mul_f64_e32 v[195:196], s[30:31], v[102:103]
	v_fma_f64 v[197:198], v[100:101], s[20:21], -v[195:196]
	s_delay_alu instid0(VALU_DEP_1) | instskip(SKIP_3) | instid1(VALU_DEP_1)
	v_add_f64_e32 v[80:81], v[197:198], v[80:81]
	v_mul_f64_e32 v[197:198], s[30:31], v[98:99]
	s_mov_b32 s31, 0x3fedeba7
	s_mov_b32 s30, s10
	v_fma_f64 v[199:200], v[96:97], s[20:21], v[197:198]
	s_delay_alu instid0(VALU_DEP_1) | instskip(SKIP_2) | instid1(VALU_DEP_2)
	v_add_f64_e32 v[199:200], v[199:200], v[82:83]
	v_fma_f64 v[82:83], v[109:110], s[28:29], -v[127:128]
	v_fma_f64 v[127:128], v[109:110], s[28:29], v[127:128]
	v_add_f64_e32 v[82:83], v[82:83], v[80:81]
	v_fma_f64 v[80:81], v[104:105], s[28:29], v[129:130]
	s_delay_alu instid0(VALU_DEP_1) | instskip(SKIP_2) | instid1(VALU_DEP_2)
	v_add_f64_e32 v[80:81], v[80:81], v[199:200]
	v_mul_f64_e32 v[199:200], s[4:5], v[139:140]
	v_mul_f64_e32 v[139:140], s[26:27], v[139:140]
	v_fma_f64 v[201:202], v[143:144], s[14:15], -v[199:200]
	v_fma_f64 v[149:150], v[143:144], s[14:15], v[199:200]
	s_delay_alu instid0(VALU_DEP_2) | instskip(SKIP_1) | instid1(VALU_DEP_3)
	v_add_f64_e32 v[84:85], v[201:202], v[84:85]
	v_mul_f64_e32 v[201:202], s[4:5], v[141:142]
	v_add_f64_e32 v[149:150], v[149:150], v[155:156]
	v_mul_f64_e32 v[141:142], s[26:27], v[141:142]
	s_delay_alu instid0(VALU_DEP_3) | instskip(SKIP_1) | instid1(VALU_DEP_2)
	v_fma_f64 v[203:204], v[145:146], s[14:15], v[201:202]
	v_fma_f64 v[151:152], v[145:146], s[14:15], -v[201:202]
	v_add_f64_e32 v[86:87], v[203:204], v[86:87]
	s_wait_alu 0xfffe
	v_mul_f64_e32 v[203:204], s[30:31], v[94:95]
	s_delay_alu instid0(VALU_DEP_3) | instskip(SKIP_1) | instid1(VALU_DEP_3)
	v_add_f64_e32 v[151:152], v[151:152], v[175:176]
	v_mul_f64_e32 v[94:95], s[24:25], v[94:95]
	v_fma_f64 v[205:206], v[135:136], s[18:19], -v[203:204]
	v_fma_f64 v[153:154], v[135:136], s[18:19], v[203:204]
	s_delay_alu instid0(VALU_DEP_2) | instskip(SKIP_1) | instid1(VALU_DEP_3)
	v_add_f64_e32 v[84:85], v[205:206], v[84:85]
	v_mul_f64_e32 v[205:206], s[30:31], v[133:134]
	v_add_f64_e32 v[149:150], v[153:154], v[149:150]
	s_delay_alu instid0(VALU_DEP_2) | instskip(SKIP_1) | instid1(VALU_DEP_2)
	v_fma_f64 v[207:208], v[137:138], s[18:19], v[205:206]
	v_fma_f64 v[153:154], v[137:138], s[18:19], -v[205:206]
	v_add_f64_e32 v[86:87], v[207:208], v[86:87]
	v_fma_f64 v[207:208], v[92:93], s[28:29], -v[123:124]
	v_fma_f64 v[123:124], v[92:93], s[28:29], v[123:124]
	s_delay_alu instid0(VALU_DEP_4) | instskip(NEXT) | instid1(VALU_DEP_3)
	v_add_f64_e32 v[151:152], v[153:154], v[151:152]
	v_add_f64_e32 v[84:85], v[207:208], v[84:85]
	v_fma_f64 v[207:208], v[88:89], s[28:29], v[125:126]
	s_delay_alu instid0(VALU_DEP_4) | instskip(SKIP_1) | instid1(VALU_DEP_3)
	v_add_f64_e32 v[123:124], v[123:124], v[149:150]
	v_fma_f64 v[125:126], v[88:89], s[28:29], -v[125:126]
	v_add_f64_e32 v[86:87], v[207:208], v[86:87]
	v_mul_f64_e32 v[207:208], s[26:27], v[102:103]
	s_delay_alu instid0(VALU_DEP_3) | instskip(SKIP_2) | instid1(VALU_DEP_4)
	v_add_f64_e32 v[125:126], v[125:126], v[151:152]
	v_fma_f64 v[151:152], v[104:105], s[16:17], -v[219:220]
	v_mul_f64_e32 v[102:103], s[6:7], v[102:103]
	v_fma_f64 v[209:210], v[100:101], s[22:23], -v[207:208]
	v_fma_f64 v[149:150], v[100:101], s[22:23], v[207:208]
	s_delay_alu instid0(VALU_DEP_2) | instskip(SKIP_1) | instid1(VALU_DEP_3)
	v_add_f64_e32 v[84:85], v[209:210], v[84:85]
	v_mul_f64_e32 v[209:210], s[26:27], v[98:99]
	v_add_f64_e32 v[123:124], v[149:150], v[123:124]
	v_mul_f64_e32 v[98:99], s[6:7], v[98:99]
	s_delay_alu instid0(VALU_DEP_3) | instskip(SKIP_1) | instid1(VALU_DEP_2)
	v_fma_f64 v[149:150], v[96:97], s[22:23], -v[209:210]
	v_fma_f64 v[211:212], v[96:97], s[22:23], v[209:210]
	v_add_f64_e32 v[149:150], v[149:150], v[125:126]
	v_fma_f64 v[125:126], v[109:110], s[16:17], v[217:218]
	s_delay_alu instid0(VALU_DEP_3) | instskip(SKIP_1) | instid1(VALU_DEP_3)
	v_add_f64_e32 v[211:212], v[211:212], v[86:87]
	v_fma_f64 v[86:87], v[109:110], s[16:17], -v[217:218]
	v_add_f64_e32 v[125:126], v[125:126], v[123:124]
	v_add_f64_e32 v[123:124], v[151:152], v[149:150]
	v_fma_f64 v[149:150], v[143:144], s[18:19], v[187:188]
	v_fma_f64 v[151:152], v[135:136], s[14:15], v[167:168]
	v_add_f64_e32 v[86:87], v[86:87], v[84:85]
	v_fma_f64 v[84:85], v[104:105], s[16:17], v[219:220]
	s_delay_alu instid0(VALU_DEP_4) | instskip(NEXT) | instid1(VALU_DEP_2)
	v_add_f64_e32 v[149:150], v[149:150], v[157:158]
	v_add_f64_e32 v[84:85], v[84:85], v[211:212]
	s_delay_alu instid0(VALU_DEP_2) | instskip(SKIP_1) | instid1(VALU_DEP_1)
	v_add_f64_e32 v[149:150], v[151:152], v[149:150]
	v_fma_f64 v[151:152], v[137:138], s[14:15], -v[189:190]
	v_add_f64_e32 v[147:148], v[151:152], v[147:148]
	v_fma_f64 v[151:152], v[92:93], s[16:17], v[191:192]
	s_delay_alu instid0(VALU_DEP_1) | instskip(SKIP_1) | instid1(VALU_DEP_1)
	v_add_f64_e32 v[149:150], v[151:152], v[149:150]
	v_fma_f64 v[151:152], v[88:89], s[16:17], -v[193:194]
	v_add_f64_e32 v[147:148], v[151:152], v[147:148]
	v_fma_f64 v[151:152], v[100:101], s[20:21], v[195:196]
	s_delay_alu instid0(VALU_DEP_1) | instskip(SKIP_1) | instid1(VALU_DEP_1)
	v_add_f64_e32 v[149:150], v[151:152], v[149:150]
	v_fma_f64 v[151:152], v[96:97], s[20:21], -v[197:198]
	v_add_f64_e32 v[147:148], v[151:152], v[147:148]
	v_fma_f64 v[151:152], v[104:105], s[28:29], -v[129:130]
	s_delay_alu instid0(VALU_DEP_4) | instskip(SKIP_2) | instid1(VALU_DEP_4)
	v_add_f64_e32 v[129:130], v[127:128], v[149:150]
	v_fma_f64 v[149:150], v[145:146], s[22:23], v[141:142]
	v_fma_f64 v[141:142], v[145:146], s[22:23], -v[141:142]
	v_add_f64_e32 v[127:128], v[151:152], v[147:148]
	v_fma_f64 v[147:148], v[143:144], s[22:23], -v[139:140]
	v_fma_f64 v[151:152], v[135:136], s[20:21], -v[94:95]
	v_add_f64_e32 v[149:150], v[149:150], v[185:186]
	v_fma_f64 v[139:140], v[143:144], s[22:23], v[139:140]
	v_fma_f64 v[94:95], v[135:136], s[20:21], v[94:95]
	v_add_f64_e32 v[147:148], v[147:148], v[179:180]
	s_delay_alu instid0(VALU_DEP_3) | instskip(SKIP_1) | instid1(VALU_DEP_3)
	v_add_f64_e32 v[135:136], v[139:140], v[159:160]
	v_add_f64_e32 v[139:140], v[141:142], v[177:178]
	;; [unrolled: 1-line block ×3, first 2 shown]
	v_mul_f64_e32 v[151:152], s[24:25], v[133:134]
	s_delay_alu instid0(VALU_DEP_4) | instskip(NEXT) | instid1(VALU_DEP_2)
	v_add_f64_e32 v[94:95], v[94:95], v[135:136]
	v_fma_f64 v[133:134], v[137:138], s[20:21], v[151:152]
	v_fma_f64 v[137:138], v[137:138], s[20:21], -v[151:152]
	s_delay_alu instid0(VALU_DEP_2) | instskip(SKIP_1) | instid1(VALU_DEP_1)
	v_add_f64_e32 v[133:134], v[133:134], v[149:150]
	v_mul_f64_e32 v[149:150], s[10:11], v[131:132]
	v_fma_f64 v[131:132], v[92:93], s[18:19], -v[149:150]
	v_fma_f64 v[92:93], v[92:93], s[18:19], v[149:150]
	s_delay_alu instid0(VALU_DEP_2)
	v_add_f64_e32 v[131:132], v[131:132], v[147:148]
	v_fma_f64 v[147:148], v[88:89], s[18:19], v[90:91]
	v_fma_f64 v[88:89], v[88:89], s[18:19], -v[90:91]
	v_add_f64_e32 v[90:91], v[137:138], v[139:140]
	v_add_f64_e32 v[92:93], v[92:93], v[94:95]
	v_fma_f64 v[94:95], v[96:97], s[16:17], -v[98:99]
	v_add_f64_e32 v[133:134], v[147:148], v[133:134]
	v_fma_f64 v[147:148], v[100:101], s[16:17], -v[102:103]
	v_fma_f64 v[100:101], v[100:101], s[16:17], v[102:103]
	v_add_f64_e32 v[88:89], v[88:89], v[90:91]
	v_fma_f64 v[90:91], v[109:110], s[14:15], v[111:112]
	s_delay_alu instid0(VALU_DEP_4) | instskip(SKIP_4) | instid1(VALU_DEP_4)
	v_add_f64_e32 v[131:132], v[147:148], v[131:132]
	v_fma_f64 v[147:148], v[96:97], s[16:17], v[98:99]
	v_add_f64_e32 v[92:93], v[100:101], v[92:93]
	v_fma_f64 v[96:97], v[104:105], s[14:15], -v[106:107]
	v_add_f64_e32 v[88:89], v[94:95], v[88:89]
	v_add_f64_e32 v[147:148], v[147:148], v[133:134]
	v_fma_f64 v[133:134], v[109:110], s[14:15], -v[111:112]
	v_add_f64_e32 v[90:91], v[90:91], v[92:93]
	s_delay_alu instid0(VALU_DEP_4) | instskip(SKIP_1) | instid1(VALU_DEP_1)
	v_add_f64_e32 v[88:89], v[96:97], v[88:89]
	v_and_b32_e32 v92, 0xffff, v216
	v_lshl_add_u32 v92, v92, 4, v215
	v_add_f64_e32 v[133:134], v[133:134], v[131:132]
	v_fma_f64 v[131:132], v[104:105], s[14:15], v[106:107]
	s_delay_alu instid0(VALU_DEP_1)
	v_add_f64_e32 v[131:132], v[131:132], v[147:148]
	ds_store_b128 v92, v[80:83] offset:32
	ds_store_b128 v92, v[84:87] offset:48
	;; [unrolled: 1-line block ×11, first 2 shown]
	ds_store_b128 v92, v[0:3]
	ds_store_b128 v92, v[88:91] offset:192
.LBB0_13:
	s_or_b32 exec_lo, exec_lo, s33
	global_wb scope:SCOPE_SE
	s_wait_dscnt 0x0
	s_barrier_signal -1
	s_barrier_wait -1
	global_inv scope:SCOPE_SE
	ds_load_b128 v[0:3], v114 offset:1872
	ds_load_b128 v[4:7], v114 offset:3744
	;; [unrolled: 1-line block ×7, first 2 shown]
	s_mov_b32 s4, 0xe8584caa
	s_mov_b32 s5, 0xbfebb67a
	;; [unrolled: 1-line block ×3, first 2 shown]
	s_wait_alu 0xfffe
	s_mov_b32 s6, s4
	s_mov_b32 s10, 0x8c811c17
	;; [unrolled: 1-line block ×7, first 2 shown]
	s_wait_dscnt 0x6
	v_mul_f64_e32 v[84:85], v[30:31], v[2:3]
	s_wait_dscnt 0x5
	v_mul_f64_e32 v[86:87], v[26:27], v[6:7]
	v_mul_f64_e32 v[30:31], v[30:31], v[0:1]
	v_mul_f64_e32 v[26:27], v[26:27], v[4:5]
	s_wait_dscnt 0x4
	v_mul_f64_e32 v[88:89], v[22:23], v[10:11]
	s_wait_dscnt 0x3
	v_mul_f64_e32 v[90:91], v[18:19], v[14:15]
	v_mul_f64_e32 v[22:23], v[22:23], v[8:9]
	v_mul_f64_e32 v[18:19], v[18:19], v[12:13]
	;; [unrolled: 6-line block ×3, first 2 shown]
	v_fma_f64 v[84:85], v[28:29], v[0:1], v[84:85]
	v_fma_f64 v[86:87], v[24:25], v[4:5], v[86:87]
	v_fma_f64 v[28:29], v[28:29], v[2:3], -v[30:31]
	v_fma_f64 v[24:25], v[24:25], v[6:7], -v[26:27]
	v_fma_f64 v[8:9], v[20:21], v[8:9], v[88:89]
	v_fma_f64 v[12:13], v[16:17], v[12:13], v[90:91]
	v_fma_f64 v[10:11], v[20:21], v[10:11], -v[22:23]
	v_fma_f64 v[14:15], v[16:17], v[14:15], -v[18:19]
	;; [unrolled: 4-line block ×3, first 2 shown]
	ds_load_b128 v[0:3], v114
	ds_load_b128 v[4:7], v114 offset:624
	global_wb scope:SCOPE_SE
	s_wait_dscnt 0x0
	s_barrier_signal -1
	s_barrier_wait -1
	global_inv scope:SCOPE_SE
	v_add_f64_e32 v[72:73], v[0:1], v[84:85]
	v_add_f64_e32 v[26:27], v[84:85], v[86:87]
	v_add_f64_e64 v[84:85], v[84:85], -v[86:87]
	v_add_f64_e32 v[30:31], v[28:29], v[24:25]
	v_add_f64_e64 v[74:75], v[28:29], -v[24:25]
	v_add_f64_e32 v[32:33], v[8:9], v[12:13]
	v_add_f64_e32 v[28:29], v[2:3], v[28:29]
	;; [unrolled: 1-line block ×9, first 2 shown]
	v_add_f64_e64 v[92:93], v[10:11], -v[14:15]
	v_add_f64_e64 v[94:95], v[8:9], -v[12:13]
	;; [unrolled: 1-line block ×3, first 2 shown]
	v_fma_f64 v[26:27], v[26:27], -0.5, v[0:1]
	v_add_f64_e32 v[0:1], v[72:73], v[86:87]
	v_fma_f64 v[30:31], v[30:31], -0.5, v[2:3]
	v_fma_f64 v[32:33], v[32:33], -0.5, v[4:5]
	v_add_f64_e32 v[2:3], v[28:29], v[24:25]
	v_fma_f64 v[34:35], v[34:35], -0.5, v[6:7]
	v_add_f64_e32 v[4:5], v[76:77], v[12:13]
	v_fma_f64 v[36:37], v[36:37], -0.5, v[80:81]
	v_add_f64_e64 v[80:81], v[16:17], -v[18:19]
	v_fma_f64 v[38:39], v[38:39], -0.5, v[82:83]
	v_add_f64_e32 v[6:7], v[78:79], v[14:15]
	v_add_f64_e32 v[8:9], v[88:89], v[18:19]
	v_add_f64_e32 v[10:11], v[90:91], v[22:23]
	v_fma_f64 v[12:13], v[74:75], s[4:5], v[26:27]
	s_wait_alu 0xfffe
	v_fma_f64 v[16:17], v[74:75], s[6:7], v[26:27]
	v_fma_f64 v[14:15], v[84:85], s[6:7], v[30:31]
	;; [unrolled: 1-line block ×11, first 2 shown]
	s_mov_b32 s6, 0xe8584cab
	ds_store_b128 v118, v[0:3]
	ds_store_b128 v118, v[12:15] offset:208
	ds_store_b128 v118, v[16:19] offset:416
	ds_store_b128 v117, v[4:7]
	ds_store_b128 v117, v[20:23] offset:208
	ds_store_b128 v117, v[24:27] offset:416
	;; [unrolled: 3-line block ×3, first 2 shown]
	global_wb scope:SCOPE_SE
	s_wait_dscnt 0x0
	s_barrier_signal -1
	s_barrier_wait -1
	global_inv scope:SCOPE_SE
	ds_load_b128 v[0:3], v114 offset:624
	ds_load_b128 v[4:7], v114 offset:4992
	;; [unrolled: 1-line block ×7, first 2 shown]
	s_wait_alu 0xfffe
	s_mov_b32 s4, s6
	s_wait_dscnt 0x6
	v_mul_f64_e32 v[28:29], v[50:51], v[2:3]
	v_mul_f64_e32 v[30:31], v[50:51], v[0:1]
	s_wait_dscnt 0x5
	v_mul_f64_e32 v[32:33], v[58:59], v[6:7]
	v_mul_f64_e32 v[34:35], v[58:59], v[4:5]
	;; [unrolled: 3-line block ×6, first 2 shown]
	v_fma_f64 v[28:29], v[48:49], v[0:1], v[28:29]
	v_fma_f64 v[30:31], v[48:49], v[2:3], -v[30:31]
	v_fma_f64 v[4:5], v[56:57], v[4:5], v[32:33]
	v_fma_f64 v[6:7], v[56:57], v[6:7], -v[34:35]
	;; [unrolled: 2-line block ×6, first 2 shown]
	ds_load_b128 v[0:3], v114 offset:3744
	s_wait_dscnt 0x1
	v_mul_f64_e32 v[32:33], v[46:47], v[26:27]
	v_mul_f64_e32 v[34:35], v[46:47], v[24:25]
	s_wait_dscnt 0x0
	v_mul_f64_e32 v[36:37], v[42:43], v[2:3]
	v_mul_f64_e32 v[38:39], v[42:43], v[0:1]
	v_add_f64_e64 v[42:43], v[28:29], -v[4:5]
	v_add_f64_e64 v[46:47], v[30:31], -v[6:7]
	v_add_f64_e32 v[28:29], v[28:29], v[4:5]
	v_add_f64_e32 v[30:31], v[30:31], v[6:7]
	;; [unrolled: 1-line block ×4, first 2 shown]
	v_add_f64_e64 v[52:53], v[8:9], -v[12:13]
	v_add_f64_e64 v[54:55], v[10:11], -v[14:15]
	v_add_f64_e32 v[56:57], v[16:17], v[20:21]
	v_add_f64_e32 v[58:59], v[18:19], v[22:23]
	ds_load_b128 v[4:7], v114
	v_fma_f64 v[24:25], v[44:45], v[24:25], v[32:33]
	v_fma_f64 v[26:27], v[44:45], v[26:27], -v[34:35]
	v_add_f64_e64 v[16:17], v[16:17], -v[20:21]
	v_add_f64_e64 v[18:19], v[18:19], -v[22:23]
	v_fma_f64 v[0:1], v[40:41], v[0:1], v[36:37]
	v_fma_f64 v[2:3], v[40:41], v[2:3], -v[38:39]
	v_mul_f64_e32 v[20:21], s[14:15], v[42:43]
	v_mul_f64_e32 v[22:23], s[14:15], v[46:47]
	s_wait_dscnt 0x0
	v_fma_f64 v[32:33], v[28:29], s[16:17], v[4:5]
	s_mov_b32 s15, 0xbfe491b7
	v_fma_f64 v[34:35], v[48:49], s[16:17], v[4:5]
	v_fma_f64 v[36:37], v[50:51], s[16:17], v[6:7]
	v_mul_f64_e32 v[38:39], s[10:11], v[52:53]
	v_mul_f64_e32 v[40:41], s[10:11], v[54:55]
	v_fma_f64 v[44:45], v[56:57], s[16:17], v[4:5]
	v_fma_f64 v[60:61], v[58:59], s[16:17], v[6:7]
	s_wait_alu 0xfffe
	v_mul_f64_e32 v[62:63], s[14:15], v[54:55]
	v_mul_f64_e32 v[64:65], s[14:15], v[52:53]
	v_fma_f64 v[66:67], v[30:31], s[16:17], v[6:7]
	v_add_f64_e32 v[72:73], v[56:57], v[28:29]
	v_add_f64_e32 v[74:75], v[58:59], v[30:31]
	s_mov_b32 s16, 0x7e0b738b
	s_mov_b32 s17, 0x3fc63a1a
	v_add_f64_e32 v[68:69], v[24:25], v[0:1]
	v_add_f64_e32 v[70:71], v[26:27], v[2:3]
	v_add_f64_e64 v[0:1], v[24:25], -v[0:1]
	v_add_f64_e64 v[2:3], v[26:27], -v[2:3]
	v_fma_f64 v[20:21], v[16:17], s[10:11], v[20:21]
	v_fma_f64 v[22:23], v[18:19], s[10:11], v[22:23]
	s_wait_alu 0xfffe
	v_fma_f64 v[24:25], v[56:57], s[16:17], v[32:33]
	v_fma_f64 v[26:27], v[28:29], s[16:17], v[34:35]
	;; [unrolled: 1-line block ×3, first 2 shown]
	v_fma_f64 v[34:35], v[16:17], s[14:15], -v[38:39]
	v_fma_f64 v[36:37], v[18:19], s[14:15], -v[40:41]
	v_fma_f64 v[38:39], v[48:49], s[16:17], v[44:45]
	v_fma_f64 v[40:41], v[50:51], s[16:17], v[60:61]
	;; [unrolled: 1-line block ×5, first 2 shown]
	v_add_f64_e32 v[80:81], v[48:49], v[72:73]
	v_add_f64_e32 v[82:83], v[50:51], v[74:75]
	;; [unrolled: 1-line block ×4, first 2 shown]
	s_mov_b32 s10, 0x748a0bf8
	s_mov_b32 s14, 0x42522d1b
	;; [unrolled: 1-line block ×4, first 2 shown]
	v_add_f64_e32 v[72:73], v[68:69], v[72:73]
	v_add_f64_e32 v[74:75], v[70:71], v[74:75]
	;; [unrolled: 1-line block ×4, first 2 shown]
	v_fma_f64 v[20:21], v[0:1], s[6:7], v[20:21]
	v_fma_f64 v[22:23], v[2:3], s[6:7], v[22:23]
	v_fma_f64 v[24:25], v[68:69], -0.5, v[24:25]
	v_fma_f64 v[26:27], v[68:69], -0.5, v[26:27]
	;; [unrolled: 1-line block ×3, first 2 shown]
	v_fma_f64 v[34:35], v[0:1], s[6:7], v[34:35]
	v_fma_f64 v[36:37], v[2:3], s[6:7], v[36:37]
	v_fma_f64 v[38:39], v[68:69], -0.5, v[38:39]
	v_fma_f64 v[40:41], v[70:71], -0.5, v[40:41]
	v_fma_f64 v[2:3], v[2:3], s[4:5], v[44:45]
	v_fma_f64 v[0:1], v[0:1], s[4:5], v[60:61]
	v_fma_f64 v[44:45], v[70:71], -0.5, v[62:63]
	v_add_f64_e64 v[60:61], v[64:65], -v[16:17]
	v_add_f64_e64 v[62:63], v[66:67], -v[18:19]
	v_add_f64_e32 v[8:9], v[8:9], v[72:73]
	v_add_f64_e32 v[10:11], v[10:11], v[74:75]
	v_fma_f64 v[64:65], v[80:81], -0.5, v[76:77]
	v_fma_f64 v[66:67], v[82:83], -0.5, v[78:79]
	s_wait_alu 0xfffe
	v_fma_f64 v[52:53], v[52:53], s[10:11], v[20:21]
	v_fma_f64 v[54:55], v[54:55], s[10:11], v[22:23]
	;; [unrolled: 1-line block ×12, first 2 shown]
	v_mul_f64_e32 v[40:41], s[6:7], v[60:61]
	v_mul_f64_e32 v[42:43], s[6:7], v[62:63]
	v_add_f64_e32 v[44:45], v[12:13], v[8:9]
	v_add_f64_e32 v[46:47], v[14:15], v[10:11]
	v_fma_f64 v[0:1], v[62:63], s[4:5], v[64:65]
	v_fma_f64 v[2:3], v[60:61], s[6:7], v[66:67]
	v_add_f64_e64 v[8:9], v[20:21], -v[54:55]
	v_add_f64_e64 v[12:13], v[28:29], -v[32:33]
	v_add_f64_e32 v[14:15], v[26:27], v[30:31]
	v_add_f64_e64 v[16:17], v[22:23], -v[34:35]
	v_add_f64_e32 v[18:19], v[36:37], v[24:25]
	v_add_f64_e32 v[10:11], v[52:53], v[38:39]
	;; [unrolled: 1-line block ×4, first 2 shown]
	v_fma_f64 v[20:21], v[42:43], 2.0, v[0:1]
	v_fma_f64 v[22:23], v[40:41], -2.0, v[2:3]
	v_fma_f64 v[24:25], v[54:55], 2.0, v[8:9]
	v_fma_f64 v[28:29], v[32:33], 2.0, v[12:13]
	v_fma_f64 v[30:31], v[26:27], -2.0, v[14:15]
	v_fma_f64 v[32:33], v[34:35], 2.0, v[16:17]
	v_fma_f64 v[34:35], v[36:37], -2.0, v[18:19]
	v_fma_f64 v[26:27], v[52:53], -2.0, v[10:11]
	ds_store_b128 v115, v[4:7]
	ds_store_b128 v113, v[0:3] offset:1872
	ds_store_b128 v113, v[12:15] offset:2496
	;; [unrolled: 1-line block ×8, first 2 shown]
	global_wb scope:SCOPE_SE
	s_wait_dscnt 0x0
	s_barrier_signal -1
	s_barrier_wait -1
	global_inv scope:SCOPE_SE
	s_and_b32 exec_lo, exec_lo, vcc_lo
	s_cbranch_execz .LBB0_15
; %bb.14:
	s_clause 0xb
	global_load_b128 v[0:3], v213, s[8:9]
	global_load_b128 v[4:7], v213, s[8:9] offset:432
	global_load_b128 v[8:11], v213, s[8:9] offset:864
	;; [unrolled: 1-line block ×11, first 2 shown]
	v_mad_co_u64_u32 v[80:81], null, s2, v108, 0
	v_mad_co_u64_u32 v[96:97], null, s0, v214, 0
	s_delay_alu instid0(VALU_DEP_2) | instskip(NEXT) | instid1(VALU_DEP_2)
	v_mov_b32_e32 v48, v81
	v_mov_b32_e32 v56, v97
	s_delay_alu instid0(VALU_DEP_2)
	v_mad_co_u64_u32 v[64:65], null, s3, v108, v[48:49]
	ds_load_b128 v[48:51], v115
	ds_load_b128 v[52:55], v113 offset:432
	v_mad_co_u64_u32 v[82:83], null, s1, v214, v[56:57]
	ds_load_b128 v[56:59], v113 offset:864
	ds_load_b128 v[60:63], v113 offset:1296
	s_mul_u64 s[0:1], s[0:1], 0x1b0
	s_mov_b32 s2, 0xc201756d
	v_mov_b32_e32 v81, v64
	ds_load_b128 v[64:67], v113 offset:1728
	ds_load_b128 v[68:71], v113 offset:2160
	;; [unrolled: 1-line block ×4, first 2 shown]
	s_mov_b32 s3, 0x3f6756ca
	v_mov_b32_e32 v97, v82
	v_lshlrev_b64_e32 v[98:99], 4, v[80:81]
	ds_load_b128 v[80:83], v113 offset:3456
	ds_load_b128 v[84:87], v113 offset:3888
	;; [unrolled: 1-line block ×4, first 2 shown]
	v_lshlrev_b64_e32 v[96:97], 4, v[96:97]
	v_add_co_u32 v112, vcc_lo, s12, v98
	v_add_co_ci_u32_e32 v124, vcc_lo, s13, v99, vcc_lo
	s_delay_alu instid0(VALU_DEP_2) | instskip(SKIP_1) | instid1(VALU_DEP_2)
	v_add_co_u32 v96, vcc_lo, v112, v96
	s_wait_alu 0xfffd
	v_add_co_ci_u32_e32 v97, vcc_lo, v124, v97, vcc_lo
	s_wait_alu 0xfffe
	s_delay_alu instid0(VALU_DEP_2) | instskip(SKIP_1) | instid1(VALU_DEP_2)
	v_add_co_u32 v124, vcc_lo, v96, s0
	s_wait_alu 0xfffd
	v_add_co_ci_u32_e32 v125, vcc_lo, s1, v97, vcc_lo
	s_delay_alu instid0(VALU_DEP_2) | instskip(SKIP_1) | instid1(VALU_DEP_2)
	v_add_co_u32 v126, vcc_lo, v124, s0
	s_wait_alu 0xfffd
	v_add_co_ci_u32_e32 v127, vcc_lo, s1, v125, vcc_lo
	s_wait_loadcnt_dscnt 0xb0b
	v_mul_f64_e32 v[98:99], v[50:51], v[2:3]
	v_mul_f64_e32 v[2:3], v[48:49], v[2:3]
	s_wait_loadcnt_dscnt 0xa0a
	v_mul_f64_e32 v[100:101], v[54:55], v[6:7]
	v_mul_f64_e32 v[6:7], v[52:53], v[6:7]
	;; [unrolled: 3-line block ×12, first 2 shown]
	v_fma_f64 v[48:49], v[48:49], v[0:1], v[98:99]
	v_fma_f64 v[2:3], v[0:1], v[50:51], -v[2:3]
	v_fma_f64 v[50:51], v[52:53], v[4:5], v[100:101]
	v_fma_f64 v[6:7], v[4:5], v[54:55], -v[6:7]
	;; [unrolled: 2-line block ×12, first 2 shown]
	v_add_co_u32 v72, vcc_lo, v126, s0
	s_wait_alu 0xfffd
	v_add_co_ci_u32_e32 v73, vcc_lo, s1, v127, vcc_lo
	s_delay_alu instid0(VALU_DEP_2) | instskip(SKIP_1) | instid1(VALU_DEP_2)
	v_add_co_u32 v74, vcc_lo, v72, s0
	s_wait_alu 0xfffd
	v_add_co_ci_u32_e32 v75, vcc_lo, s1, v73, vcc_lo
	s_delay_alu instid0(VALU_DEP_2) | instskip(SKIP_1) | instid1(VALU_DEP_2)
	v_add_co_u32 v76, vcc_lo, v74, s0
	s_wait_alu 0xfffd
	v_add_co_ci_u32_e32 v77, vcc_lo, s1, v75, vcc_lo
	v_mul_f64_e32 v[0:1], s[2:3], v[48:49]
	v_mul_f64_e32 v[2:3], s[2:3], v[2:3]
	;; [unrolled: 1-line block ×24, first 2 shown]
	v_add_co_u32 v48, vcc_lo, v76, s0
	s_wait_alu 0xfffd
	v_add_co_ci_u32_e32 v49, vcc_lo, s1, v77, vcc_lo
	s_delay_alu instid0(VALU_DEP_2) | instskip(SKIP_1) | instid1(VALU_DEP_2)
	v_add_co_u32 v50, vcc_lo, v48, s0
	s_wait_alu 0xfffd
	v_add_co_ci_u32_e32 v51, vcc_lo, s1, v49, vcc_lo
	s_delay_alu instid0(VALU_DEP_2) | instskip(SKIP_1) | instid1(VALU_DEP_2)
	;; [unrolled: 4-line block ×5, first 2 shown]
	v_add_co_u32 v58, vcc_lo, v56, s0
	s_wait_alu 0xfffd
	v_add_co_ci_u32_e32 v59, vcc_lo, s1, v57, vcc_lo
	s_clause 0x4
	global_store_b128 v[96:97], v[0:3], off
	global_store_b128 v[124:125], v[4:7], off
	;; [unrolled: 1-line block ×12, first 2 shown]
	global_load_b128 v[0:3], v213, s[8:9] offset:5184
	ds_load_b128 v[4:7], v113 offset:5184
	s_wait_loadcnt_dscnt 0x0
	v_mul_f64_e32 v[8:9], v[6:7], v[2:3]
	v_mul_f64_e32 v[2:3], v[4:5], v[2:3]
	s_delay_alu instid0(VALU_DEP_2) | instskip(NEXT) | instid1(VALU_DEP_2)
	v_fma_f64 v[4:5], v[4:5], v[0:1], v[8:9]
	v_fma_f64 v[2:3], v[0:1], v[6:7], -v[2:3]
	s_delay_alu instid0(VALU_DEP_2) | instskip(NEXT) | instid1(VALU_DEP_2)
	v_mul_f64_e32 v[0:1], s[2:3], v[4:5]
	v_mul_f64_e32 v[2:3], s[2:3], v[2:3]
	v_add_co_u32 v4, vcc_lo, v58, s0
	s_wait_alu 0xfffd
	v_add_co_ci_u32_e32 v5, vcc_lo, s1, v59, vcc_lo
	global_store_b128 v[4:5], v[0:3], off
.LBB0_15:
	s_nop 0
	s_sendmsg sendmsg(MSG_DEALLOC_VGPRS)
	s_endpgm
	.section	.rodata,"a",@progbits
	.p2align	6, 0x0
	.amdhsa_kernel bluestein_single_back_len351_dim1_dp_op_CI_CI
		.amdhsa_group_segment_fixed_size 16848
		.amdhsa_private_segment_fixed_size 0
		.amdhsa_kernarg_size 104
		.amdhsa_user_sgpr_count 2
		.amdhsa_user_sgpr_dispatch_ptr 0
		.amdhsa_user_sgpr_queue_ptr 0
		.amdhsa_user_sgpr_kernarg_segment_ptr 1
		.amdhsa_user_sgpr_dispatch_id 0
		.amdhsa_user_sgpr_private_segment_size 0
		.amdhsa_wavefront_size32 1
		.amdhsa_uses_dynamic_stack 0
		.amdhsa_enable_private_segment 0
		.amdhsa_system_sgpr_workgroup_id_x 1
		.amdhsa_system_sgpr_workgroup_id_y 0
		.amdhsa_system_sgpr_workgroup_id_z 0
		.amdhsa_system_sgpr_workgroup_info 0
		.amdhsa_system_vgpr_workitem_id 0
		.amdhsa_next_free_vgpr 256
		.amdhsa_next_free_sgpr 46
		.amdhsa_reserve_vcc 1
		.amdhsa_float_round_mode_32 0
		.amdhsa_float_round_mode_16_64 0
		.amdhsa_float_denorm_mode_32 3
		.amdhsa_float_denorm_mode_16_64 3
		.amdhsa_fp16_overflow 0
		.amdhsa_workgroup_processor_mode 1
		.amdhsa_memory_ordered 1
		.amdhsa_forward_progress 0
		.amdhsa_round_robin_scheduling 0
		.amdhsa_exception_fp_ieee_invalid_op 0
		.amdhsa_exception_fp_denorm_src 0
		.amdhsa_exception_fp_ieee_div_zero 0
		.amdhsa_exception_fp_ieee_overflow 0
		.amdhsa_exception_fp_ieee_underflow 0
		.amdhsa_exception_fp_ieee_inexact 0
		.amdhsa_exception_int_div_zero 0
	.end_amdhsa_kernel
	.text
.Lfunc_end0:
	.size	bluestein_single_back_len351_dim1_dp_op_CI_CI, .Lfunc_end0-bluestein_single_back_len351_dim1_dp_op_CI_CI
                                        ; -- End function
	.section	.AMDGPU.csdata,"",@progbits
; Kernel info:
; codeLenInByte = 13856
; NumSgprs: 48
; NumVgprs: 256
; ScratchSize: 0
; MemoryBound: 0
; FloatMode: 240
; IeeeMode: 1
; LDSByteSize: 16848 bytes/workgroup (compile time only)
; SGPRBlocks: 5
; VGPRBlocks: 31
; NumSGPRsForWavesPerEU: 48
; NumVGPRsForWavesPerEU: 256
; Occupancy: 5
; WaveLimiterHint : 1
; COMPUTE_PGM_RSRC2:SCRATCH_EN: 0
; COMPUTE_PGM_RSRC2:USER_SGPR: 2
; COMPUTE_PGM_RSRC2:TRAP_HANDLER: 0
; COMPUTE_PGM_RSRC2:TGID_X_EN: 1
; COMPUTE_PGM_RSRC2:TGID_Y_EN: 0
; COMPUTE_PGM_RSRC2:TGID_Z_EN: 0
; COMPUTE_PGM_RSRC2:TIDIG_COMP_CNT: 0
	.text
	.p2alignl 7, 3214868480
	.fill 96, 4, 3214868480
	.type	__hip_cuid_d1b2782e7229cff,@object ; @__hip_cuid_d1b2782e7229cff
	.section	.bss,"aw",@nobits
	.globl	__hip_cuid_d1b2782e7229cff
__hip_cuid_d1b2782e7229cff:
	.byte	0                               ; 0x0
	.size	__hip_cuid_d1b2782e7229cff, 1

	.ident	"AMD clang version 19.0.0git (https://github.com/RadeonOpenCompute/llvm-project roc-6.4.0 25133 c7fe45cf4b819c5991fe208aaa96edf142730f1d)"
	.section	".note.GNU-stack","",@progbits
	.addrsig
	.addrsig_sym __hip_cuid_d1b2782e7229cff
	.amdgpu_metadata
---
amdhsa.kernels:
  - .args:
      - .actual_access:  read_only
        .address_space:  global
        .offset:         0
        .size:           8
        .value_kind:     global_buffer
      - .actual_access:  read_only
        .address_space:  global
        .offset:         8
        .size:           8
        .value_kind:     global_buffer
      - .actual_access:  read_only
        .address_space:  global
        .offset:         16
        .size:           8
        .value_kind:     global_buffer
      - .actual_access:  read_only
        .address_space:  global
        .offset:         24
        .size:           8
        .value_kind:     global_buffer
      - .actual_access:  read_only
        .address_space:  global
        .offset:         32
        .size:           8
        .value_kind:     global_buffer
      - .offset:         40
        .size:           8
        .value_kind:     by_value
      - .address_space:  global
        .offset:         48
        .size:           8
        .value_kind:     global_buffer
      - .address_space:  global
        .offset:         56
        .size:           8
        .value_kind:     global_buffer
      - .address_space:  global
        .offset:         64
        .size:           8
        .value_kind:     global_buffer
      - .address_space:  global
        .offset:         72
        .size:           8
        .value_kind:     global_buffer
      - .offset:         80
        .size:           4
        .value_kind:     by_value
      - .address_space:  global
        .offset:         88
        .size:           8
        .value_kind:     global_buffer
      - .address_space:  global
        .offset:         96
        .size:           8
        .value_kind:     global_buffer
    .group_segment_fixed_size: 16848
    .kernarg_segment_align: 8
    .kernarg_segment_size: 104
    .language:       OpenCL C
    .language_version:
      - 2
      - 0
    .max_flat_workgroup_size: 117
    .name:           bluestein_single_back_len351_dim1_dp_op_CI_CI
    .private_segment_fixed_size: 0
    .sgpr_count:     48
    .sgpr_spill_count: 0
    .symbol:         bluestein_single_back_len351_dim1_dp_op_CI_CI.kd
    .uniform_work_group_size: 1
    .uses_dynamic_stack: false
    .vgpr_count:     256
    .vgpr_spill_count: 0
    .wavefront_size: 32
    .workgroup_processor_mode: 1
amdhsa.target:   amdgcn-amd-amdhsa--gfx1201
amdhsa.version:
  - 1
  - 2
...

	.end_amdgpu_metadata
